;; amdgpu-corpus repo=ROCm/rocBLAS kind=compiled arch=gfx1250 opt=O3
	.amdgcn_target "amdgcn-amd-amdhsa--gfx1250"
	.amdhsa_code_object_version 6
	.section	.text._ZL19rocblas_copy_kernelIlLi256EPfS0_EviT1_lT_lT2_lS2_li,"axG",@progbits,_ZL19rocblas_copy_kernelIlLi256EPfS0_EviT1_lT_lT2_lS2_li,comdat
	.globl	_ZL19rocblas_copy_kernelIlLi256EPfS0_EviT1_lT_lT2_lS2_li ; -- Begin function _ZL19rocblas_copy_kernelIlLi256EPfS0_EviT1_lT_lT2_lS2_li
	.p2align	8
	.type	_ZL19rocblas_copy_kernelIlLi256EPfS0_EviT1_lT_lT2_lS2_li,@function
_ZL19rocblas_copy_kernelIlLi256EPfS0_EviT1_lT_lT2_lS2_li: ; @_ZL19rocblas_copy_kernelIlLi256EPfS0_EviT1_lT_lT2_lS2_li
; %bb.0:
	s_load_b32 s20, s[0:1], 0x48
	s_bfe_u32 s2, ttmp6, 0x40014
	s_lshr_b32 s3, ttmp7, 16
	s_add_co_i32 s2, s2, 1
	s_bfe_u32 s4, ttmp6, 0x40008
	s_mul_i32 s2, s3, s2
	s_getreg_b32 s21, hwreg(HW_REG_IB_STS2, 6, 4)
	s_add_co_i32 s4, s4, s2
	s_cmp_eq_u32 s21, 0
	s_cselect_b32 s2, s3, s4
	s_mov_b32 s3, 0
	s_wait_kmcnt 0x0
	s_cmp_ge_u32 s2, s20
	s_cbranch_scc1 .LBB0_5
; %bb.1:
	s_clause 0x1
	s_load_b32 s22, s[0:1], 0x0
	s_load_b512 s[4:19], s[0:1], 0x8
	s_wait_xcnt 0x0
	s_bfe_u32 s0, ttmp6, 0x4000c
	s_and_b32 s1, ttmp6, 15
	s_add_co_i32 s0, s0, 1
	v_mov_b32_e32 v1, 0
	s_mul_i32 s0, ttmp9, s0
	s_delay_alu instid0(SALU_CYCLE_1)
	s_add_co_i32 s24, s1, s0
	s_wait_kmcnt 0x0
	s_ashr_i32 s23, s22, 31
	s_lshl_b64 s[0:1], s[6:7], 2
	s_lshl_b64 s[6:7], s[14:15], 2
	s_cmp_eq_u32 s21, 0
	s_add_nc_u64 s[0:1], s[4:5], s[0:1]
	s_cselect_b32 s14, ttmp9, s24
	s_add_nc_u64 s[4:5], s[12:13], s[6:7]
	v_lshl_or_b32 v0, s14, 8, v0
	s_delay_alu instid0(VALU_DEP_1) | instskip(SKIP_2) | instid1(VALU_DEP_3)
	v_mul_u64_e32 v[2:3], s[8:9], v[0:1]
	v_mul_u64_e32 v[4:5], s[16:17], v[0:1]
	v_cmp_gt_i64_e32 vcc_lo, s[22:23], v[0:1]
	v_lshl_add_u64 v[0:1], v[2:3], 2, s[0:1]
	s_delay_alu instid0(VALU_DEP_3)
	v_lshl_add_u64 v[2:3], v[4:5], 2, s[4:5]
	s_branch .LBB0_3
.LBB0_2:                                ;   in Loop: Header=BB0_3 Depth=1
	s_wait_xcnt 0x0
	s_or_b32 exec_lo, exec_lo, s0
	s_add_co_i32 s2, s2, 0x10000
	s_delay_alu instid0(SALU_CYCLE_1)
	s_cmp_lt_u32 s2, s20
	s_cbranch_scc0 .LBB0_5
.LBB0_3:                                ; =>This Inner Loop Header: Depth=1
	s_and_saveexec_b32 s0, vcc_lo
	s_cbranch_execz .LBB0_2
; %bb.4:                                ;   in Loop: Header=BB0_3 Depth=1
	s_mul_u64 s[4:5], s[10:11], s[2:3]
	s_delay_alu instid0(SALU_CYCLE_1)
	v_lshl_add_u64 v[4:5], s[4:5], 2, v[0:1]
	s_mul_u64 s[4:5], s[18:19], s[2:3]
	global_load_b32 v6, v[4:5], off
	s_wait_xcnt 0x0
	v_lshl_add_u64 v[4:5], s[4:5], 2, v[2:3]
	s_wait_loadcnt 0x0
	global_store_b32 v[4:5], v6, off
	s_branch .LBB0_2
.LBB0_5:
	s_endpgm
	.section	.rodata,"a",@progbits
	.p2align	6, 0x0
	.amdhsa_kernel _ZL19rocblas_copy_kernelIlLi256EPfS0_EviT1_lT_lT2_lS2_li
		.amdhsa_group_segment_fixed_size 0
		.amdhsa_private_segment_fixed_size 0
		.amdhsa_kernarg_size 76
		.amdhsa_user_sgpr_count 2
		.amdhsa_user_sgpr_dispatch_ptr 0
		.amdhsa_user_sgpr_queue_ptr 0
		.amdhsa_user_sgpr_kernarg_segment_ptr 1
		.amdhsa_user_sgpr_dispatch_id 0
		.amdhsa_user_sgpr_kernarg_preload_length 0
		.amdhsa_user_sgpr_kernarg_preload_offset 0
		.amdhsa_user_sgpr_private_segment_size 0
		.amdhsa_wavefront_size32 1
		.amdhsa_uses_dynamic_stack 0
		.amdhsa_enable_private_segment 0
		.amdhsa_system_sgpr_workgroup_id_x 1
		.amdhsa_system_sgpr_workgroup_id_y 0
		.amdhsa_system_sgpr_workgroup_id_z 1
		.amdhsa_system_sgpr_workgroup_info 0
		.amdhsa_system_vgpr_workitem_id 0
		.amdhsa_next_free_vgpr 7
		.amdhsa_next_free_sgpr 25
		.amdhsa_named_barrier_count 0
		.amdhsa_reserve_vcc 1
		.amdhsa_float_round_mode_32 0
		.amdhsa_float_round_mode_16_64 0
		.amdhsa_float_denorm_mode_32 3
		.amdhsa_float_denorm_mode_16_64 3
		.amdhsa_fp16_overflow 0
		.amdhsa_memory_ordered 1
		.amdhsa_forward_progress 1
		.amdhsa_inst_pref_size 3
		.amdhsa_round_robin_scheduling 0
		.amdhsa_exception_fp_ieee_invalid_op 0
		.amdhsa_exception_fp_denorm_src 0
		.amdhsa_exception_fp_ieee_div_zero 0
		.amdhsa_exception_fp_ieee_overflow 0
		.amdhsa_exception_fp_ieee_underflow 0
		.amdhsa_exception_fp_ieee_inexact 0
		.amdhsa_exception_int_div_zero 0
	.end_amdhsa_kernel
	.section	.text._ZL19rocblas_copy_kernelIlLi256EPfS0_EviT1_lT_lT2_lS2_li,"axG",@progbits,_ZL19rocblas_copy_kernelIlLi256EPfS0_EviT1_lT_lT2_lS2_li,comdat
.Lfunc_end0:
	.size	_ZL19rocblas_copy_kernelIlLi256EPfS0_EviT1_lT_lT2_lS2_li, .Lfunc_end0-_ZL19rocblas_copy_kernelIlLi256EPfS0_EviT1_lT_lT2_lS2_li
                                        ; -- End function
	.set _ZL19rocblas_copy_kernelIlLi256EPfS0_EviT1_lT_lT2_lS2_li.num_vgpr, 7
	.set _ZL19rocblas_copy_kernelIlLi256EPfS0_EviT1_lT_lT2_lS2_li.num_agpr, 0
	.set _ZL19rocblas_copy_kernelIlLi256EPfS0_EviT1_lT_lT2_lS2_li.numbered_sgpr, 25
	.set _ZL19rocblas_copy_kernelIlLi256EPfS0_EviT1_lT_lT2_lS2_li.num_named_barrier, 0
	.set _ZL19rocblas_copy_kernelIlLi256EPfS0_EviT1_lT_lT2_lS2_li.private_seg_size, 0
	.set _ZL19rocblas_copy_kernelIlLi256EPfS0_EviT1_lT_lT2_lS2_li.uses_vcc, 1
	.set _ZL19rocblas_copy_kernelIlLi256EPfS0_EviT1_lT_lT2_lS2_li.uses_flat_scratch, 0
	.set _ZL19rocblas_copy_kernelIlLi256EPfS0_EviT1_lT_lT2_lS2_li.has_dyn_sized_stack, 0
	.set _ZL19rocblas_copy_kernelIlLi256EPfS0_EviT1_lT_lT2_lS2_li.has_recursion, 0
	.set _ZL19rocblas_copy_kernelIlLi256EPfS0_EviT1_lT_lT2_lS2_li.has_indirect_call, 0
	.section	.AMDGPU.csdata,"",@progbits
; Kernel info:
; codeLenInByte = 308
; TotalNumSgprs: 27
; NumVgprs: 7
; ScratchSize: 0
; MemoryBound: 0
; FloatMode: 240
; IeeeMode: 1
; LDSByteSize: 0 bytes/workgroup (compile time only)
; SGPRBlocks: 0
; VGPRBlocks: 0
; NumSGPRsForWavesPerEU: 27
; NumVGPRsForWavesPerEU: 7
; NamedBarCnt: 0
; Occupancy: 16
; WaveLimiterHint : 0
; COMPUTE_PGM_RSRC2:SCRATCH_EN: 0
; COMPUTE_PGM_RSRC2:USER_SGPR: 2
; COMPUTE_PGM_RSRC2:TRAP_HANDLER: 0
; COMPUTE_PGM_RSRC2:TGID_X_EN: 1
; COMPUTE_PGM_RSRC2:TGID_Y_EN: 0
; COMPUTE_PGM_RSRC2:TGID_Z_EN: 1
; COMPUTE_PGM_RSRC2:TIDIG_COMP_CNT: 0
	.section	.text._ZL22rocblas_scopy_2_kernelILi256EPfS0_EviT0_llT1_lli,"axG",@progbits,_ZL22rocblas_scopy_2_kernelILi256EPfS0_EviT0_llT1_lli,comdat
	.globl	_ZL22rocblas_scopy_2_kernelILi256EPfS0_EviT0_llT1_lli ; -- Begin function _ZL22rocblas_scopy_2_kernelILi256EPfS0_EviT0_llT1_lli
	.p2align	8
	.type	_ZL22rocblas_scopy_2_kernelILi256EPfS0_EviT0_llT1_lli,@function
_ZL22rocblas_scopy_2_kernelILi256EPfS0_EviT0_llT1_lli: ; @_ZL22rocblas_scopy_2_kernelILi256EPfS0_EviT0_llT1_lli
; %bb.0:
	s_load_b32 s12, s[0:1], 0x38
	s_bfe_u32 s2, ttmp6, 0x40014
	s_lshr_b32 s3, ttmp7, 16
	s_add_co_i32 s2, s2, 1
	s_bfe_u32 s4, ttmp6, 0x40008
	s_mul_i32 s2, s3, s2
	s_getreg_b32 s13, hwreg(HW_REG_IB_STS2, 6, 4)
	s_add_co_i32 s4, s4, s2
	s_cmp_eq_u32 s13, 0
	s_cselect_b32 s2, s3, s4
	s_mov_b32 s3, 0
	s_wait_kmcnt 0x0
	s_cmp_ge_u32 s2, s12
	s_cbranch_scc1 .LBB1_7
; %bb.1:
	s_clause 0x3
	s_load_b32 s20, s[0:1], 0x0
	s_load_b128 s[4:7], s[0:1], 0x10
	s_load_b128 s[8:11], s[0:1], 0x28
	s_load_b64 s[14:15], s[0:1], 0x8
	s_bfe_u32 s18, ttmp6, 0x4000c
	s_load_b64 s[16:17], s[0:1], 0x20
	s_add_co_i32 s18, s18, 1
	s_wait_xcnt 0x0
	s_and_b32 s0, ttmp6, 15
	s_mul_i32 s1, ttmp9, s18
	v_dual_mov_b32 v1, 0 :: v_dual_lshlrev_b32 v0, 1, v0
	s_add_co_i32 s0, s0, s1
	s_cmp_eq_u32 s13, 0
	s_cselect_b32 s0, ttmp9, s0
	s_delay_alu instid0(VALU_DEP_1) | instid1(SALU_CYCLE_1)
	v_lshl_or_b32 v0, s0, 9, v0
	s_wait_kmcnt 0x0
	s_add_co_i32 s18, s20, -1
	s_lshl_b64 s[4:5], s[4:5], 2
	s_ashr_i32 s19, s18, 31
	s_lshl_b64 s[8:9], s[8:9], 2
	v_cmp_eq_u64_e64 s0, s[18:19], v[0:1]
	v_cmp_gt_i64_e32 vcc_lo, s[18:19], v[0:1]
	v_lshlrev_b64_e32 v[0:1], 2, v[0:1]
	s_bitcmp1_b32 s20, 0
	s_add_nc_u64 s[4:5], s[14:15], s[4:5]
	s_cselect_b32 s1, -1, 0
	s_add_nc_u64 s[8:9], s[16:17], s[8:9]
	s_and_b32 s0, s1, s0
	s_branch .LBB1_3
.LBB1_2:                                ;   in Loop: Header=BB1_3 Depth=1
	s_wait_xcnt 0x0
	s_or_b32 exec_lo, exec_lo, s1
	s_add_co_i32 s2, s2, 0x10000
	s_delay_alu instid0(SALU_CYCLE_1)
	s_cmp_lt_u32 s2, s12
	s_cbranch_scc0 .LBB1_7
.LBB1_3:                                ; =>This Inner Loop Header: Depth=1
	s_mul_u64 s[14:15], s[6:7], s[2:3]
	s_mul_u64 s[16:17], s[10:11], s[2:3]
	s_lshl_b64 s[14:15], s[14:15], 2
	s_lshl_b64 s[16:17], s[16:17], 2
	s_add_nc_u64 s[14:15], s[4:5], s[14:15]
	s_add_nc_u64 s[16:17], s[8:9], s[16:17]
	v_add_nc_u64_e32 v[2:3], s[14:15], v[0:1]
	v_add_nc_u64_e32 v[4:5], s[16:17], v[0:1]
	s_and_saveexec_b32 s1, vcc_lo
	s_cbranch_execnz .LBB1_5
; %bb.4:                                ;   in Loop: Header=BB1_3 Depth=1
	s_or_b32 exec_lo, exec_lo, s1
	s_and_saveexec_b32 s1, s0
	s_cbranch_execz .LBB1_2
	s_branch .LBB1_6
.LBB1_5:                                ;   in Loop: Header=BB1_3 Depth=1
	global_load_b64 v[6:7], v[2:3], off
	s_wait_loadcnt 0x0
	global_store_b64 v[4:5], v[6:7], off
	s_wait_xcnt 0x0
	s_or_b32 exec_lo, exec_lo, s1
	s_and_saveexec_b32 s1, s0
	s_cbranch_execz .LBB1_2
.LBB1_6:                                ;   in Loop: Header=BB1_3 Depth=1
	global_load_b32 v2, v[2:3], off
	s_wait_loadcnt 0x0
	global_store_b32 v[4:5], v2, off
	s_branch .LBB1_2
.LBB1_7:
	s_endpgm
	.section	.rodata,"a",@progbits
	.p2align	6, 0x0
	.amdhsa_kernel _ZL22rocblas_scopy_2_kernelILi256EPfS0_EviT0_llT1_lli
		.amdhsa_group_segment_fixed_size 0
		.amdhsa_private_segment_fixed_size 0
		.amdhsa_kernarg_size 60
		.amdhsa_user_sgpr_count 2
		.amdhsa_user_sgpr_dispatch_ptr 0
		.amdhsa_user_sgpr_queue_ptr 0
		.amdhsa_user_sgpr_kernarg_segment_ptr 1
		.amdhsa_user_sgpr_dispatch_id 0
		.amdhsa_user_sgpr_kernarg_preload_length 0
		.amdhsa_user_sgpr_kernarg_preload_offset 0
		.amdhsa_user_sgpr_private_segment_size 0
		.amdhsa_wavefront_size32 1
		.amdhsa_uses_dynamic_stack 0
		.amdhsa_enable_private_segment 0
		.amdhsa_system_sgpr_workgroup_id_x 1
		.amdhsa_system_sgpr_workgroup_id_y 0
		.amdhsa_system_sgpr_workgroup_id_z 1
		.amdhsa_system_sgpr_workgroup_info 0
		.amdhsa_system_vgpr_workitem_id 0
		.amdhsa_next_free_vgpr 8
		.amdhsa_next_free_sgpr 21
		.amdhsa_named_barrier_count 0
		.amdhsa_reserve_vcc 1
		.amdhsa_float_round_mode_32 0
		.amdhsa_float_round_mode_16_64 0
		.amdhsa_float_denorm_mode_32 3
		.amdhsa_float_denorm_mode_16_64 3
		.amdhsa_fp16_overflow 0
		.amdhsa_memory_ordered 1
		.amdhsa_forward_progress 1
		.amdhsa_inst_pref_size 4
		.amdhsa_round_robin_scheduling 0
		.amdhsa_exception_fp_ieee_invalid_op 0
		.amdhsa_exception_fp_denorm_src 0
		.amdhsa_exception_fp_ieee_div_zero 0
		.amdhsa_exception_fp_ieee_overflow 0
		.amdhsa_exception_fp_ieee_underflow 0
		.amdhsa_exception_fp_ieee_inexact 0
		.amdhsa_exception_int_div_zero 0
	.end_amdhsa_kernel
	.section	.text._ZL22rocblas_scopy_2_kernelILi256EPfS0_EviT0_llT1_lli,"axG",@progbits,_ZL22rocblas_scopy_2_kernelILi256EPfS0_EviT0_llT1_lli,comdat
.Lfunc_end1:
	.size	_ZL22rocblas_scopy_2_kernelILi256EPfS0_EviT0_llT1_lli, .Lfunc_end1-_ZL22rocblas_scopy_2_kernelILi256EPfS0_EviT0_llT1_lli
                                        ; -- End function
	.set _ZL22rocblas_scopy_2_kernelILi256EPfS0_EviT0_llT1_lli.num_vgpr, 8
	.set _ZL22rocblas_scopy_2_kernelILi256EPfS0_EviT0_llT1_lli.num_agpr, 0
	.set _ZL22rocblas_scopy_2_kernelILi256EPfS0_EviT0_llT1_lli.numbered_sgpr, 21
	.set _ZL22rocblas_scopy_2_kernelILi256EPfS0_EviT0_llT1_lli.num_named_barrier, 0
	.set _ZL22rocblas_scopy_2_kernelILi256EPfS0_EviT0_llT1_lli.private_seg_size, 0
	.set _ZL22rocblas_scopy_2_kernelILi256EPfS0_EviT0_llT1_lli.uses_vcc, 1
	.set _ZL22rocblas_scopy_2_kernelILi256EPfS0_EviT0_llT1_lli.uses_flat_scratch, 0
	.set _ZL22rocblas_scopy_2_kernelILi256EPfS0_EviT0_llT1_lli.has_dyn_sized_stack, 0
	.set _ZL22rocblas_scopy_2_kernelILi256EPfS0_EviT0_llT1_lli.has_recursion, 0
	.set _ZL22rocblas_scopy_2_kernelILi256EPfS0_EviT0_llT1_lli.has_indirect_call, 0
	.section	.AMDGPU.csdata,"",@progbits
; Kernel info:
; codeLenInByte = 392
; TotalNumSgprs: 23
; NumVgprs: 8
; ScratchSize: 0
; MemoryBound: 0
; FloatMode: 240
; IeeeMode: 1
; LDSByteSize: 0 bytes/workgroup (compile time only)
; SGPRBlocks: 0
; VGPRBlocks: 0
; NumSGPRsForWavesPerEU: 23
; NumVGPRsForWavesPerEU: 8
; NamedBarCnt: 0
; Occupancy: 16
; WaveLimiterHint : 0
; COMPUTE_PGM_RSRC2:SCRATCH_EN: 0
; COMPUTE_PGM_RSRC2:USER_SGPR: 2
; COMPUTE_PGM_RSRC2:TRAP_HANDLER: 0
; COMPUTE_PGM_RSRC2:TGID_X_EN: 1
; COMPUTE_PGM_RSRC2:TGID_Y_EN: 0
; COMPUTE_PGM_RSRC2:TGID_Z_EN: 1
; COMPUTE_PGM_RSRC2:TIDIG_COMP_CNT: 0
	.section	.text._ZL19rocblas_copy_kernelIiLi256EPfS0_EviT1_lT_lT2_lS2_li,"axG",@progbits,_ZL19rocblas_copy_kernelIiLi256EPfS0_EviT1_lT_lT2_lS2_li,comdat
	.globl	_ZL19rocblas_copy_kernelIiLi256EPfS0_EviT1_lT_lT2_lS2_li ; -- Begin function _ZL19rocblas_copy_kernelIiLi256EPfS0_EviT1_lT_lT2_lS2_li
	.p2align	8
	.type	_ZL19rocblas_copy_kernelIiLi256EPfS0_EviT1_lT_lT2_lS2_li,@function
_ZL19rocblas_copy_kernelIiLi256EPfS0_EviT1_lT_lT2_lS2_li: ; @_ZL19rocblas_copy_kernelIiLi256EPfS0_EviT1_lT_lT2_lS2_li
; %bb.0:
	s_load_b32 s12, s[0:1], 0x48
	s_bfe_u32 s2, ttmp6, 0x40014
	s_lshr_b32 s3, ttmp7, 16
	s_add_co_i32 s2, s2, 1
	s_bfe_u32 s4, ttmp6, 0x40008
	s_mul_i32 s2, s3, s2
	s_getreg_b32 s8, hwreg(HW_REG_IB_STS2, 6, 4)
	s_add_co_i32 s4, s4, s2
	s_cmp_eq_u32 s8, 0
	s_cselect_b32 s2, s3, s4
	s_mov_b32 s3, 0
	s_wait_kmcnt 0x0
	s_cmp_ge_u32 s2, s12
	s_cbranch_scc1 .LBB2_5
; %bb.1:
	s_clause 0x3
	s_load_b32 s14, s[0:1], 0x0
	s_load_b32 s10, s[0:1], 0x18
	s_load_b96 s[16:18], s[0:1], 0x30
	s_load_b128 s[4:7], s[0:1], 0x8
	s_bfe_u32 s9, ttmp6, 0x4000c
	s_and_b32 s11, ttmp6, 15
	s_add_co_i32 s9, s9, 1
	v_mov_b32_e32 v1, 0
	s_mul_i32 s9, ttmp9, s9
	s_delay_alu instid0(SALU_CYCLE_1)
	s_add_co_i32 s13, s11, s9
	s_wait_kmcnt 0x0
	s_ashr_i32 s15, s14, 31
	s_ashr_i32 s11, s10, 31
	;; [unrolled: 1-line block ×3, first 2 shown]
	s_lshl_b64 s[20:21], s[6:7], 2
	s_lshl_b64 s[16:17], s[16:17], 2
	s_cmp_eq_u32 s8, 0
	s_mov_b32 s8, s18
	s_cselect_b32 s6, ttmp9, s13
	s_delay_alu instid0(SALU_CYCLE_1) | instskip(NEXT) | instid1(VALU_DEP_1)
	v_lshl_or_b32 v0, s6, 8, v0
	v_mul_u64_e32 v[2:3], s[10:11], v[0:1]
	v_mul_u64_e32 v[4:5], s[8:9], v[0:1]
	s_clause 0x1
	s_load_b128 s[8:11], s[0:1], 0x20
	s_load_b64 s[6:7], s[0:1], 0x40
	s_wait_xcnt 0x0
	s_add_nc_u64 s[0:1], s[4:5], s[20:21]
	v_cmp_gt_i64_e32 vcc_lo, s[14:15], v[0:1]
	s_wait_kmcnt 0x0
	s_add_nc_u64 s[4:5], s[10:11], s[16:17]
	s_delay_alu instid0(VALU_DEP_3) | instskip(NEXT) | instid1(VALU_DEP_3)
	v_lshl_add_u64 v[0:1], v[2:3], 2, s[0:1]
	v_lshl_add_u64 v[2:3], v[4:5], 2, s[4:5]
	s_branch .LBB2_3
.LBB2_2:                                ;   in Loop: Header=BB2_3 Depth=1
	s_wait_xcnt 0x0
	s_or_b32 exec_lo, exec_lo, s0
	s_add_co_i32 s2, s2, 0x10000
	s_delay_alu instid0(SALU_CYCLE_1)
	s_cmp_lt_u32 s2, s12
	s_cbranch_scc0 .LBB2_5
.LBB2_3:                                ; =>This Inner Loop Header: Depth=1
	s_and_saveexec_b32 s0, vcc_lo
	s_cbranch_execz .LBB2_2
; %bb.4:                                ;   in Loop: Header=BB2_3 Depth=1
	s_mul_u64 s[4:5], s[8:9], s[2:3]
	s_delay_alu instid0(SALU_CYCLE_1)
	v_lshl_add_u64 v[4:5], s[4:5], 2, v[0:1]
	s_mul_u64 s[4:5], s[6:7], s[2:3]
	global_load_b32 v6, v[4:5], off
	s_wait_xcnt 0x0
	v_lshl_add_u64 v[4:5], s[4:5], 2, v[2:3]
	s_wait_loadcnt 0x0
	global_store_b32 v[4:5], v6, off
	s_branch .LBB2_2
.LBB2_5:
	s_endpgm
	.section	.rodata,"a",@progbits
	.p2align	6, 0x0
	.amdhsa_kernel _ZL19rocblas_copy_kernelIiLi256EPfS0_EviT1_lT_lT2_lS2_li
		.amdhsa_group_segment_fixed_size 0
		.amdhsa_private_segment_fixed_size 0
		.amdhsa_kernarg_size 76
		.amdhsa_user_sgpr_count 2
		.amdhsa_user_sgpr_dispatch_ptr 0
		.amdhsa_user_sgpr_queue_ptr 0
		.amdhsa_user_sgpr_kernarg_segment_ptr 1
		.amdhsa_user_sgpr_dispatch_id 0
		.amdhsa_user_sgpr_kernarg_preload_length 0
		.amdhsa_user_sgpr_kernarg_preload_offset 0
		.amdhsa_user_sgpr_private_segment_size 0
		.amdhsa_wavefront_size32 1
		.amdhsa_uses_dynamic_stack 0
		.amdhsa_enable_private_segment 0
		.amdhsa_system_sgpr_workgroup_id_x 1
		.amdhsa_system_sgpr_workgroup_id_y 0
		.amdhsa_system_sgpr_workgroup_id_z 1
		.amdhsa_system_sgpr_workgroup_info 0
		.amdhsa_system_vgpr_workitem_id 0
		.amdhsa_next_free_vgpr 7
		.amdhsa_next_free_sgpr 22
		.amdhsa_named_barrier_count 0
		.amdhsa_reserve_vcc 1
		.amdhsa_float_round_mode_32 0
		.amdhsa_float_round_mode_16_64 0
		.amdhsa_float_denorm_mode_32 3
		.amdhsa_float_denorm_mode_16_64 3
		.amdhsa_fp16_overflow 0
		.amdhsa_memory_ordered 1
		.amdhsa_forward_progress 1
		.amdhsa_inst_pref_size 3
		.amdhsa_round_robin_scheduling 0
		.amdhsa_exception_fp_ieee_invalid_op 0
		.amdhsa_exception_fp_denorm_src 0
		.amdhsa_exception_fp_ieee_div_zero 0
		.amdhsa_exception_fp_ieee_overflow 0
		.amdhsa_exception_fp_ieee_underflow 0
		.amdhsa_exception_fp_ieee_inexact 0
		.amdhsa_exception_int_div_zero 0
	.end_amdhsa_kernel
	.section	.text._ZL19rocblas_copy_kernelIiLi256EPfS0_EviT1_lT_lT2_lS2_li,"axG",@progbits,_ZL19rocblas_copy_kernelIiLi256EPfS0_EviT1_lT_lT2_lS2_li,comdat
.Lfunc_end2:
	.size	_ZL19rocblas_copy_kernelIiLi256EPfS0_EviT1_lT_lT2_lS2_li, .Lfunc_end2-_ZL19rocblas_copy_kernelIiLi256EPfS0_EviT1_lT_lT2_lS2_li
                                        ; -- End function
	.set _ZL19rocblas_copy_kernelIiLi256EPfS0_EviT1_lT_lT2_lS2_li.num_vgpr, 7
	.set _ZL19rocblas_copy_kernelIiLi256EPfS0_EviT1_lT_lT2_lS2_li.num_agpr, 0
	.set _ZL19rocblas_copy_kernelIiLi256EPfS0_EviT1_lT_lT2_lS2_li.numbered_sgpr, 22
	.set _ZL19rocblas_copy_kernelIiLi256EPfS0_EviT1_lT_lT2_lS2_li.num_named_barrier, 0
	.set _ZL19rocblas_copy_kernelIiLi256EPfS0_EviT1_lT_lT2_lS2_li.private_seg_size, 0
	.set _ZL19rocblas_copy_kernelIiLi256EPfS0_EviT1_lT_lT2_lS2_li.uses_vcc, 1
	.set _ZL19rocblas_copy_kernelIiLi256EPfS0_EviT1_lT_lT2_lS2_li.uses_flat_scratch, 0
	.set _ZL19rocblas_copy_kernelIiLi256EPfS0_EviT1_lT_lT2_lS2_li.has_dyn_sized_stack, 0
	.set _ZL19rocblas_copy_kernelIiLi256EPfS0_EviT1_lT_lT2_lS2_li.has_recursion, 0
	.set _ZL19rocblas_copy_kernelIiLi256EPfS0_EviT1_lT_lT2_lS2_li.has_indirect_call, 0
	.section	.AMDGPU.csdata,"",@progbits
; Kernel info:
; codeLenInByte = 360
; TotalNumSgprs: 24
; NumVgprs: 7
; ScratchSize: 0
; MemoryBound: 0
; FloatMode: 240
; IeeeMode: 1
; LDSByteSize: 0 bytes/workgroup (compile time only)
; SGPRBlocks: 0
; VGPRBlocks: 0
; NumSGPRsForWavesPerEU: 24
; NumVGPRsForWavesPerEU: 7
; NamedBarCnt: 0
; Occupancy: 16
; WaveLimiterHint : 0
; COMPUTE_PGM_RSRC2:SCRATCH_EN: 0
; COMPUTE_PGM_RSRC2:USER_SGPR: 2
; COMPUTE_PGM_RSRC2:TRAP_HANDLER: 0
; COMPUTE_PGM_RSRC2:TGID_X_EN: 1
; COMPUTE_PGM_RSRC2:TGID_Y_EN: 0
; COMPUTE_PGM_RSRC2:TGID_Z_EN: 1
; COMPUTE_PGM_RSRC2:TIDIG_COMP_CNT: 0
	.section	.text._ZL20rocblas_tbmvx_kernelILi64ELi16EPKfPfEv18rocblas_operation_bbiiT1_lllS4_T2_llli,"axG",@progbits,_ZL20rocblas_tbmvx_kernelILi64ELi16EPKfPfEv18rocblas_operation_bbiiT1_lllS4_T2_llli,comdat
	.globl	_ZL20rocblas_tbmvx_kernelILi64ELi16EPKfPfEv18rocblas_operation_bbiiT1_lllS4_T2_llli ; -- Begin function _ZL20rocblas_tbmvx_kernelILi64ELi16EPKfPfEv18rocblas_operation_bbiiT1_lllS4_T2_llli
	.p2align	8
	.type	_ZL20rocblas_tbmvx_kernelILi64ELi16EPKfPfEv18rocblas_operation_bbiiT1_lllS4_T2_llli,@function
_ZL20rocblas_tbmvx_kernelILi64ELi16EPKfPfEv18rocblas_operation_bbiiT1_lllS4_T2_llli: ; @_ZL20rocblas_tbmvx_kernelILi64ELi16EPKfPfEv18rocblas_operation_bbiiT1_lllS4_T2_llli
; %bb.0:
	s_load_b64 s[2:3], s[0:1], 0x6c
	s_wait_kmcnt 0x0
	s_lshr_b32 s4, s2, 16
	s_and_b32 s2, s2, 0xffff
	s_and_b32 s3, s3, 0xffff
	s_mul_i32 s4, s4, s2
	s_delay_alu instid0(SALU_CYCLE_1) | instskip(NEXT) | instid1(SALU_CYCLE_1)
	s_mul_i32 s4, s4, s3
	s_cmp_lg_u32 s4, 0x400
	s_cbranch_scc1 .LBB3_63
; %bb.1:
	s_load_b32 s3, s[0:1], 0x58
	s_bfe_u32 s4, ttmp6, 0x40014
	s_lshr_b32 s5, ttmp7, 16
	s_add_co_i32 s4, s4, 1
	s_bfe_u32 s6, ttmp6, 0x40008
	s_mul_i32 s4, s5, s4
	s_getreg_b32 s30, hwreg(HW_REG_IB_STS2, 6, 4)
	s_add_co_i32 s6, s6, s4
	s_cmp_eq_u32 s30, 0
	s_mov_b32 s25, 0
	s_cselect_b32 s24, s5, s6
	s_wait_kmcnt 0x0
	s_cmp_ge_u32 s24, s3
	s_cbranch_scc1 .LBB3_63
; %bb.2:
	s_clause 0x2
	s_load_b512 s[4:19], s[0:1], 0x10
	s_load_b64 s[28:29], s[0:1], 0x0
	s_load_b96 s[20:22], s[0:1], 0x4
	v_and_b32_e32 v1, 0x3ff, v0
	v_bfe_u32 v0, v0, 10, 10
	v_mov_b32_e32 v5, 0
	s_delay_alu instid0(VALU_DEP_2) | instskip(NEXT) | instid1(VALU_DEP_1)
	v_mad_u32_u24 v4, v0, s2, v1
	v_dual_mov_b32 v7, v5 :: v_dual_lshrrev_b32 v6, 6, v4
	v_lshlrev_b32_e32 v9, 2, v4
	v_cmp_gt_u32_e32 vcc_lo, 64, v4
	s_wait_kmcnt 0x0
	s_lshl_b64 s[26:27], s[6:7], 2
	s_bitcmp1_b32 s29, 0
	v_mul_u64_e32 v[16:17], s[8:9], v[6:7]
	s_cselect_b32 s29, -1, 0
	s_delay_alu instid0(SALU_CYCLE_1)
	s_and_b32 s6, s29, exec_lo
	s_cselect_b32 s31, s22, 0
	s_xor_b32 s23, s29, -1
	s_bitcmp1_b32 s20, 8
	s_cselect_b32 s36, -1, 0
	s_bfe_u32 s2, ttmp6, 0x4000c
	s_and_b32 s6, ttmp6, 15
	s_add_co_i32 s2, s2, 1
	s_lshl_b64 s[34:35], s[16:17], 2
	s_mul_i32 s2, ttmp9, s2
	s_ashr_i32 s7, s21, 31
	s_add_co_i32 s6, s6, s2
	s_cmp_eq_u32 s30, 0
	s_load_b64 s[16:17], s[0:1], 0x50
	s_cselect_b32 s2, ttmp9, s6
	s_wait_xcnt 0x0
	v_cmp_gt_i64_e64 s1, s[8:9], v[6:7]
	s_lshl_b32 s20, s2, 6
	s_delay_alu instid0(SALU_CYCLE_1)
	v_dual_add_nc_u32 v10, s20, v4 :: v_dual_bitop2_b32 v8, 63, v4 bitop3:0x40
	v_lshlrev_b32_e32 v4, 2, v6
	v_cmp_ge_i32_e64 s2, s22, v6
	s_cmp_lg_u32 s28, 0x6f
	v_dual_ashrrev_i32 v11, 31, v10 :: v_dual_bitop2_b32 v0, s20, v8 bitop3:0x54
	v_add3_u32 v18, s31, s20, v8
	s_cselect_b32 s20, -1, 0
	s_add_nc_u64 s[34:35], s[14:15], s[34:35]
	s_delay_alu instid0(VALU_DEP_2)
	v_ashrrev_i32_e32 v1, 31, v0
	v_mul_u64_e32 v[12:13], s[18:19], v[10:11]
	s_add_nc_u64 s[18:19], s[4:5], s[26:27]
	v_cmp_gt_i32_e64 s0, s21, v6
	v_xad_u32 v26, v0, -1, s21
	v_mul_u64_e32 v[2:3], s[8:9], v[0:1]
	v_dual_sub_nc_u32 v27, s22, v0 :: v_dual_sub_nc_u32 v28, v18, v6
	v_subrev_nc_u32_e32 v8, s22, v0
	s_and_b32 s33, s2, s1
	s_and_b32 s1, s29, s36
	s_xor_b32 s36, s36, -1
	s_xor_b32 s37, s1, -1
	s_cmp_lg_u32 s22, 0
	v_cmp_gt_i32_e64 s2, s21, v10
	s_cselect_b32 s14, -1, 0
	v_cmp_gt_i32_e64 s1, s21, v0
	s_mov_b32 s6, s21
	s_mov_b32 s30, s22
	s_ashr_i32 s31, s22, 31
	s_and_b32 s39, vcc_lo, s2
	v_lshl_add_u64 v[16:17], v[16:17], 2, s[18:19]
	v_lshl_add_u64 v[10:11], v[12:13], 2, s[34:35]
	;; [unrolled: 1-line block ×3, first 2 shown]
	s_and_b32 s26, s29, s14
	s_lshl_b64 s[14:15], s[10:11], 2
	s_nor_b32 s38, s26, s36
	s_lshl_b64 s[26:27], s[8:9], 6
	v_add_nc_u64_e32 v[14:15], v[14:15], v[4:5]
	s_lshl_b64 s[28:29], s[30:31], 2
	s_delay_alu instid0(VALU_DEP_1)
	v_add_nc_u64_e32 v[12:13], s[4:5], v[14:15]
	v_add_nc_u64_e32 v[14:15], s[12:13], v[4:5]
	s_lshl_b64 s[4:5], s[6:7], 2
	s_branch .LBB3_4
.LBB3_3:                                ;   in Loop: Header=BB3_4 Depth=1
	s_wait_xcnt 0x0
	s_or_b32 exec_lo, exec_lo, s2
	s_add_co_i32 s24, s24, 0x10000
	s_delay_alu instid0(SALU_CYCLE_1)
	s_cmp_lt_u32 s24, s3
	s_cbranch_scc0 .LBB3_63
.LBB3_4:                                ; =>This Loop Header: Depth=1
                                        ;     Child Loop BB3_12 Depth 2
                                        ;     Child Loop BB3_40 Depth 2
	s_mul_u64 s[30:31], s[14:15], s[24:25]
	s_and_b32 vcc_lo, exec_lo, s20
	s_mov_b32 s2, -1
                                        ; implicit-def: $vgpr29
	s_cbranch_vccz .LBB3_35
; %bb.5:                                ;   in Loop: Header=BB3_4 Depth=1
	v_mov_b32_e32 v29, 0
	s_and_saveexec_b32 s40, s33
	s_cbranch_execz .LBB3_34
; %bb.6:                                ;   in Loop: Header=BB3_4 Depth=1
	s_mul_u64 s[34:35], s[10:11], s[24:25]
	s_mul_u64 s[42:43], s[24:25], s[6:7]
	s_lshl_b64 s[34:35], s[34:35], 2
	s_lshl_b64 s[42:43], s[42:43], 2
	v_add_nc_u64_e32 v[18:19], s[30:31], v[12:13]
	s_add_nc_u64 s[44:45], s[18:19], s[34:35]
	s_add_nc_u64 s[34:35], s[12:13], s[42:43]
	v_mov_b64_e32 v[24:25], v[6:7]
	v_lshl_add_u64 v[20:21], v[2:3], 2, s[44:45]
	v_lshl_add_u64 v[22:23], v[0:1], 2, s[34:35]
	v_mov_b32_e32 v29, 0
	s_mov_b32 s41, 0
	s_branch .LBB3_12
.LBB3_7:                                ;   in Loop: Header=BB3_12 Depth=2
	s_delay_alu instid0(VALU_DEP_1)
	v_mov_b32_e32 v29, v4
.LBB3_8:                                ;   in Loop: Header=BB3_12 Depth=2
	s_wait_xcnt 0x0
	s_or_b32 exec_lo, exec_lo, s43
.LBB3_9:                                ;   in Loop: Header=BB3_12 Depth=2
	s_delay_alu instid0(SALU_CYCLE_1) | instskip(NEXT) | instid1(VALU_DEP_1)
	s_or_b32 exec_lo, exec_lo, s2
	v_mov_b32_e32 v4, v29
.LBB3_10:                               ;   in Loop: Header=BB3_12 Depth=2
	s_delay_alu instid0(VALU_DEP_1)
	v_mov_b32_e32 v29, v4
.LBB3_11:                               ;   in Loop: Header=BB3_12 Depth=2
	s_or_b32 exec_lo, exec_lo, s42
	v_add_nc_u64_e32 v[24:25], 16, v[24:25]
	v_add_nc_u64_e32 v[18:19], 64, v[18:19]
	s_delay_alu instid0(VALU_DEP_2) | instskip(SKIP_1) | instid1(VALU_DEP_2)
	v_mov_b32_e32 v4, v24
	v_cmp_lt_i32_e64 s2, s22, v24
	v_cmp_le_u64_e32 vcc_lo, s[8:9], v[4:5]
	s_or_b32 s2, s2, vcc_lo
	s_delay_alu instid0(SALU_CYCLE_1) | instskip(NEXT) | instid1(SALU_CYCLE_1)
	s_and_b32 s2, exec_lo, s2
	s_or_b32 s41, s2, s41
	s_delay_alu instid0(SALU_CYCLE_1)
	s_and_not1_b32 exec_lo, exec_lo, s41
	s_cbranch_execz .LBB3_33
.LBB3_12:                               ;   Parent Loop BB3_4 Depth=1
                                        ; =>  This Inner Loop Header: Depth=2
	s_and_saveexec_b32 s42, s1
	s_cbranch_execz .LBB3_11
; %bb.13:                               ;   in Loop: Header=BB3_12 Depth=2
	s_and_b32 vcc_lo, exec_lo, s23
	s_mov_b32 s2, -1
                                        ; implicit-def: $vgpr4
	s_cbranch_vccz .LBB3_24
; %bb.14:                               ;   in Loop: Header=BB3_12 Depth=2
	v_cmp_eq_u64_e32 vcc_lo, 0, v[24:25]
	v_cmp_lt_i32_e64 s2, v26, v24
                                        ; implicit-def: $vgpr4
	s_or_b32 s2, vcc_lo, s2
	s_delay_alu instid0(SALU_CYCLE_1) | instskip(NEXT) | instid1(SALU_CYCLE_1)
	s_and_saveexec_b32 s43, s2
	s_xor_b32 s2, exec_lo, s43
	s_cbranch_execz .LBB3_21
; %bb.15:                               ;   in Loop: Header=BB3_12 Depth=2
	v_mov_b32_e32 v4, v29
	s_mov_b32 s43, exec_lo
	v_cmpx_eq_u64_e32 0, v[24:25]
	s_cbranch_execz .LBB3_20
; %bb.16:                               ;   in Loop: Header=BB3_12 Depth=2
	s_and_b32 vcc_lo, exec_lo, s36
	s_mov_b32 s44, -1
                                        ; implicit-def: $vgpr4
	s_cbranch_vccz .LBB3_18
; %bb.17:                               ;   in Loop: Header=BB3_12 Depth=2
	global_load_b32 v4, v[20:21], off
	global_load_b32 v30, v[22:23], off
	s_mov_b32 s44, 0
	s_wait_loadcnt 0x0
	v_fma_f32 v4, v4, v30, v29
.LBB3_18:                               ;   in Loop: Header=BB3_12 Depth=2
	s_and_not1_b32 vcc_lo, exec_lo, s44
	s_cbranch_vccnz .LBB3_20
; %bb.19:                               ;   in Loop: Header=BB3_12 Depth=2
	global_load_b32 v4, v[22:23], off
	s_wait_loadcnt 0x0
	v_add_f32_e32 v4, v29, v4
.LBB3_20:                               ;   in Loop: Header=BB3_12 Depth=2
	s_wait_xcnt 0x0
	s_or_b32 exec_lo, exec_lo, s43
.LBB3_21:                               ;   in Loop: Header=BB3_12 Depth=2
	s_and_not1_saveexec_b32 s2, s2
	s_cbranch_execz .LBB3_23
; %bb.22:                               ;   in Loop: Header=BB3_12 Depth=2
	v_add_nc_u32_e32 v4, v0, v24
	global_load_b32 v30, v[18:19], off
	global_load_b32 v31, v4, s[34:35] scale_offset
	s_wait_loadcnt 0x0
	s_wait_xcnt 0x0
	v_fma_f32 v4, v30, v31, v29
.LBB3_23:                               ;   in Loop: Header=BB3_12 Depth=2
	s_or_b32 exec_lo, exec_lo, s2
	s_mov_b32 s2, 0
.LBB3_24:                               ;   in Loop: Header=BB3_12 Depth=2
	s_delay_alu instid0(SALU_CYCLE_1)
	s_and_not1_b32 vcc_lo, exec_lo, s2
	s_cbranch_vccnz .LBB3_10
; %bb.25:                               ;   in Loop: Header=BB3_12 Depth=2
	v_cmp_gt_i32_e32 vcc_lo, s22, v24
	v_cmp_le_i32_e64 s2, v27, v24
	s_and_b32 s2, vcc_lo, s2
	s_delay_alu instid0(SALU_CYCLE_1) | instskip(NEXT) | instid1(SALU_CYCLE_1)
	s_and_saveexec_b32 s43, s2
	s_xor_b32 s2, exec_lo, s43
	s_cbranch_execz .LBB3_27
; %bb.26:                               ;   in Loop: Header=BB3_12 Depth=2
	v_add_nc_u32_e32 v4, v8, v24
	global_load_b32 v30, v[18:19], off
	global_load_b32 v31, v4, s[34:35] scale_offset
	s_wait_loadcnt 0x0
	v_fmac_f32_e32 v29, v30, v31
.LBB3_27:                               ;   in Loop: Header=BB3_12 Depth=2
	s_wait_xcnt 0x0
	s_and_not1_saveexec_b32 s2, s2
	s_cbranch_execz .LBB3_9
; %bb.28:                               ;   in Loop: Header=BB3_12 Depth=2
	s_mov_b32 s43, exec_lo
	v_cmpx_eq_u32_e64 s22, v24
	s_cbranch_execz .LBB3_8
; %bb.29:                               ;   in Loop: Header=BB3_12 Depth=2
	s_and_b32 vcc_lo, exec_lo, s36
	s_mov_b32 s44, -1
                                        ; implicit-def: $vgpr4
	s_cbranch_vccz .LBB3_31
; %bb.30:                               ;   in Loop: Header=BB3_12 Depth=2
	global_load_b32 v4, v[18:19], off
	global_load_b32 v30, v[22:23], off
	s_mov_b32 s44, 0
	s_wait_loadcnt 0x0
	v_fma_f32 v4, v4, v30, v29
.LBB3_31:                               ;   in Loop: Header=BB3_12 Depth=2
	s_and_not1_b32 vcc_lo, exec_lo, s44
	s_cbranch_vccnz .LBB3_7
; %bb.32:                               ;   in Loop: Header=BB3_12 Depth=2
	global_load_b32 v4, v[22:23], off
	s_wait_loadcnt 0x0
	v_add_f32_e32 v4, v29, v4
	s_branch .LBB3_7
.LBB3_33:                               ;   in Loop: Header=BB3_4 Depth=1
	s_or_b32 exec_lo, exec_lo, s41
.LBB3_34:                               ;   in Loop: Header=BB3_4 Depth=1
	s_delay_alu instid0(SALU_CYCLE_1)
	s_or_b32 exec_lo, exec_lo, s40
	s_mov_b32 s2, 0
.LBB3_35:                               ;   in Loop: Header=BB3_4 Depth=1
	s_delay_alu instid0(SALU_CYCLE_1)
	s_and_not1_b32 vcc_lo, exec_lo, s2
	s_cbranch_vccnz .LBB3_61
; %bb.36:                               ;   in Loop: Header=BB3_4 Depth=1
	v_mov_b32_e32 v29, 0
	s_and_saveexec_b32 s34, s0
	s_cbranch_execz .LBB3_60
; %bb.37:                               ;   in Loop: Header=BB3_4 Depth=1
	v_mad_nc_u64_u32 v[18:19], s4, s24, v[14:15]
	v_add_nc_u64_e32 v[20:21], s[30:31], v[16:17]
	v_dual_mov_b32 v29, 0 :: v_dual_mov_b32 v4, v28
	v_mov_b32_e32 v22, v6
	s_mov_b32 s30, 0
	s_delay_alu instid0(VALU_DEP_4)
	v_mad_u32 v19, s5, s24, v19
	s_branch .LBB3_40
.LBB3_38:                               ;   in Loop: Header=BB3_40 Depth=2
	s_wait_xcnt 0x0
	s_or_b32 exec_lo, exec_lo, s2
.LBB3_39:                               ;   in Loop: Header=BB3_40 Depth=2
	s_delay_alu instid0(SALU_CYCLE_1) | instskip(SKIP_1) | instid1(VALU_DEP_2)
	s_or_b32 exec_lo, exec_lo, s31
	v_dual_add_nc_u32 v22, 16, v22 :: v_dual_add_nc_u32 v4, -16, v4
	v_add_nc_u64_e32 v[18:19], 64, v[18:19]
	v_add_nc_u64_e32 v[20:21], s[26:27], v[20:21]
	s_delay_alu instid0(VALU_DEP_3) | instskip(SKIP_1) | instid1(SALU_CYCLE_1)
	v_cmp_le_i32_e32 vcc_lo, s21, v22
	s_or_b32 s30, vcc_lo, s30
	s_and_not1_b32 exec_lo, exec_lo, s30
	s_cbranch_execz .LBB3_59
.LBB3_40:                               ;   Parent Loop BB3_4 Depth=1
                                        ; =>  This Inner Loop Header: Depth=2
	s_and_saveexec_b32 s31, s1
	s_cbranch_execz .LBB3_39
; %bb.41:                               ;   in Loop: Header=BB3_40 Depth=2
	v_cmp_le_i32_e32 vcc_lo, s22, v4
	v_cmp_gt_i32_e64 s2, 1, v4
	s_or_b32 s2, vcc_lo, s2
	s_delay_alu instid0(SALU_CYCLE_1) | instskip(NEXT) | instid1(SALU_CYCLE_1)
	s_and_saveexec_b32 s35, s2
	s_xor_b32 s2, exec_lo, s35
	s_cbranch_execz .LBB3_57
; %bb.42:                               ;   in Loop: Header=BB3_40 Depth=2
	s_mov_b32 s35, exec_lo
	v_cmpx_ne_u32_e32 0, v4
	s_xor_b32 s35, exec_lo, s35
	s_cbranch_execz .LBB3_50
; %bb.43:                               ;   in Loop: Header=BB3_40 Depth=2
	s_mov_b32 s40, exec_lo
	v_cmpx_eq_u32_e64 s22, v4
	s_cbranch_execz .LBB3_49
; %bb.44:                               ;   in Loop: Header=BB3_40 Depth=2
	s_and_b32 vcc_lo, exec_lo, s37
	s_mov_b32 s41, -1
                                        ; implicit-def: $vgpr23
	s_cbranch_vccz .LBB3_46
; %bb.45:                               ;   in Loop: Header=BB3_40 Depth=2
	v_add_nc_u64_e32 v[24:25], s[28:29], v[20:21]
	s_mov_b32 s41, 0
	global_load_b32 v23, v[24:25], off
	global_load_b32 v30, v[18:19], off
	s_wait_loadcnt 0x0
	v_fma_f32 v23, v23, v30, v29
.LBB3_46:                               ;   in Loop: Header=BB3_40 Depth=2
	s_and_not1_b32 vcc_lo, exec_lo, s41
	s_cbranch_vccnz .LBB3_48
; %bb.47:                               ;   in Loop: Header=BB3_40 Depth=2
	global_load_b32 v23, v[18:19], off
	s_wait_loadcnt 0x0
	v_add_f32_e32 v23, v29, v23
.LBB3_48:                               ;   in Loop: Header=BB3_40 Depth=2
	s_delay_alu instid0(VALU_DEP_1)
	v_mov_b32_e32 v29, v23
.LBB3_49:                               ;   in Loop: Header=BB3_40 Depth=2
	s_wait_xcnt 0x0
	s_or_b32 exec_lo, exec_lo, s40
.LBB3_50:                               ;   in Loop: Header=BB3_40 Depth=2
	s_and_not1_saveexec_b32 s35, s35
	s_cbranch_execz .LBB3_56
; %bb.51:                               ;   in Loop: Header=BB3_40 Depth=2
	s_and_not1_b32 vcc_lo, exec_lo, s38
	s_mov_b32 s40, -1
                                        ; implicit-def: $vgpr23
	s_cbranch_vccnz .LBB3_53
; %bb.52:                               ;   in Loop: Header=BB3_40 Depth=2
	global_load_b32 v23, v[18:19], off
	s_mov_b32 s40, 0
	s_wait_loadcnt 0x0
	v_add_f32_e32 v23, v29, v23
.LBB3_53:                               ;   in Loop: Header=BB3_40 Depth=2
	s_and_not1_b32 vcc_lo, exec_lo, s40
	s_cbranch_vccnz .LBB3_55
; %bb.54:                               ;   in Loop: Header=BB3_40 Depth=2
	global_load_b32 v23, v[20:21], off
	global_load_b32 v24, v[18:19], off
	s_wait_loadcnt 0x0
	v_fmac_f32_e32 v29, v23, v24
	s_delay_alu instid0(VALU_DEP_1)
	v_mov_b32_e32 v23, v29
.LBB3_55:                               ;   in Loop: Header=BB3_40 Depth=2
	s_delay_alu instid0(VALU_DEP_1)
	v_mov_b32_e32 v29, v23
.LBB3_56:                               ;   in Loop: Header=BB3_40 Depth=2
	s_wait_xcnt 0x0
	s_or_b32 exec_lo, exec_lo, s35
.LBB3_57:                               ;   in Loop: Header=BB3_40 Depth=2
	s_and_not1_saveexec_b32 s2, s2
	s_cbranch_execz .LBB3_38
; %bb.58:                               ;   in Loop: Header=BB3_40 Depth=2
	v_lshl_add_u64 v[24:25], v[4:5], 2, v[20:21]
	global_load_b32 v23, v[24:25], off
	global_load_b32 v30, v[18:19], off
	s_wait_loadcnt 0x0
	v_fmac_f32_e32 v29, v23, v30
	s_branch .LBB3_38
.LBB3_59:                               ;   in Loop: Header=BB3_4 Depth=1
	s_or_b32 exec_lo, exec_lo, s30
.LBB3_60:                               ;   in Loop: Header=BB3_4 Depth=1
	s_delay_alu instid0(SALU_CYCLE_1)
	s_or_b32 exec_lo, exec_lo, s34
.LBB3_61:                               ;   in Loop: Header=BB3_4 Depth=1
	ds_store_b32 v9, v29
	s_wait_dscnt 0x0
	s_barrier_signal -1
	s_barrier_wait -1
	s_and_saveexec_b32 s2, s39
	s_cbranch_execz .LBB3_3
; %bb.62:                               ;   in Loop: Header=BB3_4 Depth=1
	ds_load_2addr_stride64_b32 v[18:19], v9 offset1:1
	ds_load_2addr_stride64_b32 v[20:21], v9 offset0:2 offset1:3
	ds_load_2addr_stride64_b32 v[22:23], v9 offset0:4 offset1:5
	;; [unrolled: 1-line block ×3, first 2 shown]
	s_wait_kmcnt 0x0
	s_mul_u64 s[30:31], s[16:17], s[24:25]
	s_wait_dscnt 0x3
	v_add_f32_e32 v4, v18, v19
	ds_load_2addr_stride64_b32 v[18:19], v9 offset0:8 offset1:9
	s_wait_dscnt 0x3
	v_add_f32_e32 v4, v20, v4
	s_delay_alu instid0(VALU_DEP_1) | instskip(SKIP_3) | instid1(VALU_DEP_1)
	v_add_f32_e32 v4, v21, v4
	ds_load_2addr_stride64_b32 v[20:21], v9 offset0:10 offset1:11
	s_wait_dscnt 0x3
	v_add_f32_e32 v4, v22, v4
	v_add_f32_e32 v4, v23, v4
	s_wait_dscnt 0x2
	s_delay_alu instid0(VALU_DEP_1) | instskip(NEXT) | instid1(VALU_DEP_1)
	v_add_f32_e32 v4, v24, v4
	v_add_f32_e32 v4, v25, v4
	ds_load_2addr_stride64_b32 v[22:23], v9 offset0:12 offset1:13
	ds_load_2addr_stride64_b32 v[24:25], v9 offset0:14 offset1:15
	s_wait_dscnt 0x3
	v_add_f32_e32 v4, v18, v4
	s_delay_alu instid0(VALU_DEP_1) | instskip(SKIP_2) | instid1(VALU_DEP_2)
	v_add_f32_e32 v4, v19, v4
	v_lshl_add_u64 v[18:19], s[30:31], 2, v[10:11]
	s_wait_dscnt 0x2
	v_add_f32_e32 v4, v20, v4
	s_delay_alu instid0(VALU_DEP_1) | instskip(SKIP_1) | instid1(VALU_DEP_1)
	v_add_f32_e32 v4, v21, v4
	s_wait_dscnt 0x1
	v_add_f32_e32 v4, v22, v4
	s_delay_alu instid0(VALU_DEP_1) | instskip(SKIP_1) | instid1(VALU_DEP_1)
	v_add_f32_e32 v4, v23, v4
	s_wait_dscnt 0x0
	v_add_f32_e32 v4, v24, v4
	s_delay_alu instid0(VALU_DEP_1)
	v_add_f32_e32 v4, v25, v4
	ds_store_b32 v9, v4
	global_store_b32 v[18:19], v4, off
	s_branch .LBB3_3
.LBB3_63:
	s_endpgm
	.section	.rodata,"a",@progbits
	.p2align	6, 0x0
	.amdhsa_kernel _ZL20rocblas_tbmvx_kernelILi64ELi16EPKfPfEv18rocblas_operation_bbiiT1_lllS4_T2_llli
		.amdhsa_group_segment_fixed_size 4096
		.amdhsa_private_segment_fixed_size 0
		.amdhsa_kernarg_size 352
		.amdhsa_user_sgpr_count 2
		.amdhsa_user_sgpr_dispatch_ptr 0
		.amdhsa_user_sgpr_queue_ptr 0
		.amdhsa_user_sgpr_kernarg_segment_ptr 1
		.amdhsa_user_sgpr_dispatch_id 0
		.amdhsa_user_sgpr_kernarg_preload_length 0
		.amdhsa_user_sgpr_kernarg_preload_offset 0
		.amdhsa_user_sgpr_private_segment_size 0
		.amdhsa_wavefront_size32 1
		.amdhsa_uses_dynamic_stack 0
		.amdhsa_enable_private_segment 0
		.amdhsa_system_sgpr_workgroup_id_x 1
		.amdhsa_system_sgpr_workgroup_id_y 0
		.amdhsa_system_sgpr_workgroup_id_z 1
		.amdhsa_system_sgpr_workgroup_info 0
		.amdhsa_system_vgpr_workitem_id 1
		.amdhsa_next_free_vgpr 32
		.amdhsa_next_free_sgpr 46
		.amdhsa_named_barrier_count 0
		.amdhsa_reserve_vcc 1
		.amdhsa_float_round_mode_32 0
		.amdhsa_float_round_mode_16_64 0
		.amdhsa_float_denorm_mode_32 3
		.amdhsa_float_denorm_mode_16_64 3
		.amdhsa_fp16_overflow 0
		.amdhsa_memory_ordered 1
		.amdhsa_forward_progress 1
		.amdhsa_inst_pref_size 15
		.amdhsa_round_robin_scheduling 0
		.amdhsa_exception_fp_ieee_invalid_op 0
		.amdhsa_exception_fp_denorm_src 0
		.amdhsa_exception_fp_ieee_div_zero 0
		.amdhsa_exception_fp_ieee_overflow 0
		.amdhsa_exception_fp_ieee_underflow 0
		.amdhsa_exception_fp_ieee_inexact 0
		.amdhsa_exception_int_div_zero 0
	.end_amdhsa_kernel
	.section	.text._ZL20rocblas_tbmvx_kernelILi64ELi16EPKfPfEv18rocblas_operation_bbiiT1_lllS4_T2_llli,"axG",@progbits,_ZL20rocblas_tbmvx_kernelILi64ELi16EPKfPfEv18rocblas_operation_bbiiT1_lllS4_T2_llli,comdat
.Lfunc_end3:
	.size	_ZL20rocblas_tbmvx_kernelILi64ELi16EPKfPfEv18rocblas_operation_bbiiT1_lllS4_T2_llli, .Lfunc_end3-_ZL20rocblas_tbmvx_kernelILi64ELi16EPKfPfEv18rocblas_operation_bbiiT1_lllS4_T2_llli
                                        ; -- End function
	.set _ZL20rocblas_tbmvx_kernelILi64ELi16EPKfPfEv18rocblas_operation_bbiiT1_lllS4_T2_llli.num_vgpr, 32
	.set _ZL20rocblas_tbmvx_kernelILi64ELi16EPKfPfEv18rocblas_operation_bbiiT1_lllS4_T2_llli.num_agpr, 0
	.set _ZL20rocblas_tbmvx_kernelILi64ELi16EPKfPfEv18rocblas_operation_bbiiT1_lllS4_T2_llli.numbered_sgpr, 46
	.set _ZL20rocblas_tbmvx_kernelILi64ELi16EPKfPfEv18rocblas_operation_bbiiT1_lllS4_T2_llli.num_named_barrier, 0
	.set _ZL20rocblas_tbmvx_kernelILi64ELi16EPKfPfEv18rocblas_operation_bbiiT1_lllS4_T2_llli.private_seg_size, 0
	.set _ZL20rocblas_tbmvx_kernelILi64ELi16EPKfPfEv18rocblas_operation_bbiiT1_lllS4_T2_llli.uses_vcc, 1
	.set _ZL20rocblas_tbmvx_kernelILi64ELi16EPKfPfEv18rocblas_operation_bbiiT1_lllS4_T2_llli.uses_flat_scratch, 0
	.set _ZL20rocblas_tbmvx_kernelILi64ELi16EPKfPfEv18rocblas_operation_bbiiT1_lllS4_T2_llli.has_dyn_sized_stack, 0
	.set _ZL20rocblas_tbmvx_kernelILi64ELi16EPKfPfEv18rocblas_operation_bbiiT1_lllS4_T2_llli.has_recursion, 0
	.set _ZL20rocblas_tbmvx_kernelILi64ELi16EPKfPfEv18rocblas_operation_bbiiT1_lllS4_T2_llli.has_indirect_call, 0
	.section	.AMDGPU.csdata,"",@progbits
; Kernel info:
; codeLenInByte = 1904
; TotalNumSgprs: 48
; NumVgprs: 32
; ScratchSize: 0
; MemoryBound: 0
; FloatMode: 240
; IeeeMode: 1
; LDSByteSize: 4096 bytes/workgroup (compile time only)
; SGPRBlocks: 0
; VGPRBlocks: 1
; NumSGPRsForWavesPerEU: 48
; NumVGPRsForWavesPerEU: 32
; NamedBarCnt: 0
; Occupancy: 16
; WaveLimiterHint : 1
; COMPUTE_PGM_RSRC2:SCRATCH_EN: 0
; COMPUTE_PGM_RSRC2:USER_SGPR: 2
; COMPUTE_PGM_RSRC2:TRAP_HANDLER: 0
; COMPUTE_PGM_RSRC2:TGID_X_EN: 1
; COMPUTE_PGM_RSRC2:TGID_Y_EN: 0
; COMPUTE_PGM_RSRC2:TGID_Z_EN: 1
; COMPUTE_PGM_RSRC2:TIDIG_COMP_CNT: 1
	.section	.text._ZL19rocblas_copy_kernelIlLi256EPdS0_EviT1_lT_lT2_lS2_li,"axG",@progbits,_ZL19rocblas_copy_kernelIlLi256EPdS0_EviT1_lT_lT2_lS2_li,comdat
	.globl	_ZL19rocblas_copy_kernelIlLi256EPdS0_EviT1_lT_lT2_lS2_li ; -- Begin function _ZL19rocblas_copy_kernelIlLi256EPdS0_EviT1_lT_lT2_lS2_li
	.p2align	8
	.type	_ZL19rocblas_copy_kernelIlLi256EPdS0_EviT1_lT_lT2_lS2_li,@function
_ZL19rocblas_copy_kernelIlLi256EPdS0_EviT1_lT_lT2_lS2_li: ; @_ZL19rocblas_copy_kernelIlLi256EPdS0_EviT1_lT_lT2_lS2_li
; %bb.0:
	s_load_b32 s20, s[0:1], 0x48
	s_bfe_u32 s2, ttmp6, 0x40014
	s_lshr_b32 s3, ttmp7, 16
	s_add_co_i32 s2, s2, 1
	s_bfe_u32 s4, ttmp6, 0x40008
	s_mul_i32 s2, s3, s2
	s_getreg_b32 s21, hwreg(HW_REG_IB_STS2, 6, 4)
	s_add_co_i32 s4, s4, s2
	s_cmp_eq_u32 s21, 0
	s_cselect_b32 s2, s3, s4
	s_mov_b32 s3, 0
	s_wait_kmcnt 0x0
	s_cmp_ge_u32 s2, s20
	s_cbranch_scc1 .LBB4_5
; %bb.1:
	s_clause 0x1
	s_load_b32 s22, s[0:1], 0x0
	s_load_b512 s[4:19], s[0:1], 0x8
	s_wait_xcnt 0x0
	s_bfe_u32 s0, ttmp6, 0x4000c
	s_and_b32 s1, ttmp6, 15
	s_add_co_i32 s0, s0, 1
	v_mov_b32_e32 v1, 0
	s_mul_i32 s0, ttmp9, s0
	s_delay_alu instid0(SALU_CYCLE_1)
	s_add_co_i32 s24, s1, s0
	s_wait_kmcnt 0x0
	s_ashr_i32 s23, s22, 31
	s_lshl_b64 s[0:1], s[6:7], 3
	s_lshl_b64 s[6:7], s[14:15], 3
	s_cmp_eq_u32 s21, 0
	s_add_nc_u64 s[0:1], s[4:5], s[0:1]
	s_cselect_b32 s14, ttmp9, s24
	s_add_nc_u64 s[4:5], s[12:13], s[6:7]
	v_lshl_or_b32 v0, s14, 8, v0
	s_delay_alu instid0(VALU_DEP_1) | instskip(SKIP_2) | instid1(VALU_DEP_3)
	v_mul_u64_e32 v[2:3], s[8:9], v[0:1]
	v_mul_u64_e32 v[4:5], s[16:17], v[0:1]
	v_cmp_gt_i64_e32 vcc_lo, s[22:23], v[0:1]
	v_lshl_add_u64 v[0:1], v[2:3], 3, s[0:1]
	s_delay_alu instid0(VALU_DEP_3)
	v_lshl_add_u64 v[2:3], v[4:5], 3, s[4:5]
	s_branch .LBB4_3
.LBB4_2:                                ;   in Loop: Header=BB4_3 Depth=1
	s_wait_xcnt 0x0
	s_or_b32 exec_lo, exec_lo, s0
	s_add_co_i32 s2, s2, 0x10000
	s_delay_alu instid0(SALU_CYCLE_1)
	s_cmp_lt_u32 s2, s20
	s_cbranch_scc0 .LBB4_5
.LBB4_3:                                ; =>This Inner Loop Header: Depth=1
	s_and_saveexec_b32 s0, vcc_lo
	s_cbranch_execz .LBB4_2
; %bb.4:                                ;   in Loop: Header=BB4_3 Depth=1
	s_mul_u64 s[4:5], s[10:11], s[2:3]
	s_delay_alu instid0(SALU_CYCLE_1) | instskip(SKIP_1) | instid1(SALU_CYCLE_1)
	v_lshl_add_u64 v[4:5], s[4:5], 3, v[0:1]
	s_mul_u64 s[4:5], s[18:19], s[2:3]
	v_lshl_add_u64 v[6:7], s[4:5], 3, v[2:3]
	global_load_b64 v[4:5], v[4:5], off
	s_wait_loadcnt 0x0
	global_store_b64 v[6:7], v[4:5], off
	s_branch .LBB4_2
.LBB4_5:
	s_endpgm
	.section	.rodata,"a",@progbits
	.p2align	6, 0x0
	.amdhsa_kernel _ZL19rocblas_copy_kernelIlLi256EPdS0_EviT1_lT_lT2_lS2_li
		.amdhsa_group_segment_fixed_size 0
		.amdhsa_private_segment_fixed_size 0
		.amdhsa_kernarg_size 76
		.amdhsa_user_sgpr_count 2
		.amdhsa_user_sgpr_dispatch_ptr 0
		.amdhsa_user_sgpr_queue_ptr 0
		.amdhsa_user_sgpr_kernarg_segment_ptr 1
		.amdhsa_user_sgpr_dispatch_id 0
		.amdhsa_user_sgpr_kernarg_preload_length 0
		.amdhsa_user_sgpr_kernarg_preload_offset 0
		.amdhsa_user_sgpr_private_segment_size 0
		.amdhsa_wavefront_size32 1
		.amdhsa_uses_dynamic_stack 0
		.amdhsa_enable_private_segment 0
		.amdhsa_system_sgpr_workgroup_id_x 1
		.amdhsa_system_sgpr_workgroup_id_y 0
		.amdhsa_system_sgpr_workgroup_id_z 1
		.amdhsa_system_sgpr_workgroup_info 0
		.amdhsa_system_vgpr_workitem_id 0
		.amdhsa_next_free_vgpr 8
		.amdhsa_next_free_sgpr 25
		.amdhsa_named_barrier_count 0
		.amdhsa_reserve_vcc 1
		.amdhsa_float_round_mode_32 0
		.amdhsa_float_round_mode_16_64 0
		.amdhsa_float_denorm_mode_32 3
		.amdhsa_float_denorm_mode_16_64 3
		.amdhsa_fp16_overflow 0
		.amdhsa_memory_ordered 1
		.amdhsa_forward_progress 1
		.amdhsa_inst_pref_size 3
		.amdhsa_round_robin_scheduling 0
		.amdhsa_exception_fp_ieee_invalid_op 0
		.amdhsa_exception_fp_denorm_src 0
		.amdhsa_exception_fp_ieee_div_zero 0
		.amdhsa_exception_fp_ieee_overflow 0
		.amdhsa_exception_fp_ieee_underflow 0
		.amdhsa_exception_fp_ieee_inexact 0
		.amdhsa_exception_int_div_zero 0
	.end_amdhsa_kernel
	.section	.text._ZL19rocblas_copy_kernelIlLi256EPdS0_EviT1_lT_lT2_lS2_li,"axG",@progbits,_ZL19rocblas_copy_kernelIlLi256EPdS0_EviT1_lT_lT2_lS2_li,comdat
.Lfunc_end4:
	.size	_ZL19rocblas_copy_kernelIlLi256EPdS0_EviT1_lT_lT2_lS2_li, .Lfunc_end4-_ZL19rocblas_copy_kernelIlLi256EPdS0_EviT1_lT_lT2_lS2_li
                                        ; -- End function
	.set _ZL19rocblas_copy_kernelIlLi256EPdS0_EviT1_lT_lT2_lS2_li.num_vgpr, 8
	.set _ZL19rocblas_copy_kernelIlLi256EPdS0_EviT1_lT_lT2_lS2_li.num_agpr, 0
	.set _ZL19rocblas_copy_kernelIlLi256EPdS0_EviT1_lT_lT2_lS2_li.numbered_sgpr, 25
	.set _ZL19rocblas_copy_kernelIlLi256EPdS0_EviT1_lT_lT2_lS2_li.num_named_barrier, 0
	.set _ZL19rocblas_copy_kernelIlLi256EPdS0_EviT1_lT_lT2_lS2_li.private_seg_size, 0
	.set _ZL19rocblas_copy_kernelIlLi256EPdS0_EviT1_lT_lT2_lS2_li.uses_vcc, 1
	.set _ZL19rocblas_copy_kernelIlLi256EPdS0_EviT1_lT_lT2_lS2_li.uses_flat_scratch, 0
	.set _ZL19rocblas_copy_kernelIlLi256EPdS0_EviT1_lT_lT2_lS2_li.has_dyn_sized_stack, 0
	.set _ZL19rocblas_copy_kernelIlLi256EPdS0_EviT1_lT_lT2_lS2_li.has_recursion, 0
	.set _ZL19rocblas_copy_kernelIlLi256EPdS0_EviT1_lT_lT2_lS2_li.has_indirect_call, 0
	.section	.AMDGPU.csdata,"",@progbits
; Kernel info:
; codeLenInByte = 304
; TotalNumSgprs: 27
; NumVgprs: 8
; ScratchSize: 0
; MemoryBound: 0
; FloatMode: 240
; IeeeMode: 1
; LDSByteSize: 0 bytes/workgroup (compile time only)
; SGPRBlocks: 0
; VGPRBlocks: 0
; NumSGPRsForWavesPerEU: 27
; NumVGPRsForWavesPerEU: 8
; NamedBarCnt: 0
; Occupancy: 16
; WaveLimiterHint : 0
; COMPUTE_PGM_RSRC2:SCRATCH_EN: 0
; COMPUTE_PGM_RSRC2:USER_SGPR: 2
; COMPUTE_PGM_RSRC2:TRAP_HANDLER: 0
; COMPUTE_PGM_RSRC2:TGID_X_EN: 1
; COMPUTE_PGM_RSRC2:TGID_Y_EN: 0
; COMPUTE_PGM_RSRC2:TGID_Z_EN: 1
; COMPUTE_PGM_RSRC2:TIDIG_COMP_CNT: 0
	.section	.text._ZL19rocblas_copy_kernelIiLi256EPdS0_EviT1_lT_lT2_lS2_li,"axG",@progbits,_ZL19rocblas_copy_kernelIiLi256EPdS0_EviT1_lT_lT2_lS2_li,comdat
	.globl	_ZL19rocblas_copy_kernelIiLi256EPdS0_EviT1_lT_lT2_lS2_li ; -- Begin function _ZL19rocblas_copy_kernelIiLi256EPdS0_EviT1_lT_lT2_lS2_li
	.p2align	8
	.type	_ZL19rocblas_copy_kernelIiLi256EPdS0_EviT1_lT_lT2_lS2_li,@function
_ZL19rocblas_copy_kernelIiLi256EPdS0_EviT1_lT_lT2_lS2_li: ; @_ZL19rocblas_copy_kernelIiLi256EPdS0_EviT1_lT_lT2_lS2_li
; %bb.0:
	s_load_b32 s12, s[0:1], 0x48
	s_bfe_u32 s2, ttmp6, 0x40014
	s_lshr_b32 s3, ttmp7, 16
	s_add_co_i32 s2, s2, 1
	s_bfe_u32 s4, ttmp6, 0x40008
	s_mul_i32 s2, s3, s2
	s_getreg_b32 s8, hwreg(HW_REG_IB_STS2, 6, 4)
	s_add_co_i32 s4, s4, s2
	s_cmp_eq_u32 s8, 0
	s_cselect_b32 s2, s3, s4
	s_mov_b32 s3, 0
	s_wait_kmcnt 0x0
	s_cmp_ge_u32 s2, s12
	s_cbranch_scc1 .LBB5_5
; %bb.1:
	s_clause 0x3
	s_load_b32 s14, s[0:1], 0x0
	s_load_b32 s10, s[0:1], 0x18
	s_load_b96 s[16:18], s[0:1], 0x30
	s_load_b128 s[4:7], s[0:1], 0x8
	s_bfe_u32 s9, ttmp6, 0x4000c
	s_and_b32 s11, ttmp6, 15
	s_add_co_i32 s9, s9, 1
	v_mov_b32_e32 v1, 0
	s_mul_i32 s9, ttmp9, s9
	s_delay_alu instid0(SALU_CYCLE_1)
	s_add_co_i32 s13, s11, s9
	s_wait_kmcnt 0x0
	s_ashr_i32 s15, s14, 31
	s_ashr_i32 s11, s10, 31
	;; [unrolled: 1-line block ×3, first 2 shown]
	s_lshl_b64 s[20:21], s[6:7], 3
	s_lshl_b64 s[16:17], s[16:17], 3
	s_cmp_eq_u32 s8, 0
	s_mov_b32 s8, s18
	s_cselect_b32 s6, ttmp9, s13
	s_delay_alu instid0(SALU_CYCLE_1) | instskip(NEXT) | instid1(VALU_DEP_1)
	v_lshl_or_b32 v0, s6, 8, v0
	v_mul_u64_e32 v[2:3], s[10:11], v[0:1]
	v_mul_u64_e32 v[4:5], s[8:9], v[0:1]
	s_clause 0x1
	s_load_b128 s[8:11], s[0:1], 0x20
	s_load_b64 s[6:7], s[0:1], 0x40
	s_wait_xcnt 0x0
	s_add_nc_u64 s[0:1], s[4:5], s[20:21]
	v_cmp_gt_i64_e32 vcc_lo, s[14:15], v[0:1]
	s_wait_kmcnt 0x0
	s_add_nc_u64 s[4:5], s[10:11], s[16:17]
	s_delay_alu instid0(VALU_DEP_3) | instskip(NEXT) | instid1(VALU_DEP_3)
	v_lshl_add_u64 v[0:1], v[2:3], 3, s[0:1]
	v_lshl_add_u64 v[2:3], v[4:5], 3, s[4:5]
	s_branch .LBB5_3
.LBB5_2:                                ;   in Loop: Header=BB5_3 Depth=1
	s_wait_xcnt 0x0
	s_or_b32 exec_lo, exec_lo, s0
	s_add_co_i32 s2, s2, 0x10000
	s_delay_alu instid0(SALU_CYCLE_1)
	s_cmp_lt_u32 s2, s12
	s_cbranch_scc0 .LBB5_5
.LBB5_3:                                ; =>This Inner Loop Header: Depth=1
	s_and_saveexec_b32 s0, vcc_lo
	s_cbranch_execz .LBB5_2
; %bb.4:                                ;   in Loop: Header=BB5_3 Depth=1
	s_mul_u64 s[4:5], s[8:9], s[2:3]
	s_delay_alu instid0(SALU_CYCLE_1) | instskip(SKIP_1) | instid1(SALU_CYCLE_1)
	v_lshl_add_u64 v[4:5], s[4:5], 3, v[0:1]
	s_mul_u64 s[4:5], s[6:7], s[2:3]
	v_lshl_add_u64 v[6:7], s[4:5], 3, v[2:3]
	global_load_b64 v[4:5], v[4:5], off
	s_wait_loadcnt 0x0
	global_store_b64 v[6:7], v[4:5], off
	s_branch .LBB5_2
.LBB5_5:
	s_endpgm
	.section	.rodata,"a",@progbits
	.p2align	6, 0x0
	.amdhsa_kernel _ZL19rocblas_copy_kernelIiLi256EPdS0_EviT1_lT_lT2_lS2_li
		.amdhsa_group_segment_fixed_size 0
		.amdhsa_private_segment_fixed_size 0
		.amdhsa_kernarg_size 76
		.amdhsa_user_sgpr_count 2
		.amdhsa_user_sgpr_dispatch_ptr 0
		.amdhsa_user_sgpr_queue_ptr 0
		.amdhsa_user_sgpr_kernarg_segment_ptr 1
		.amdhsa_user_sgpr_dispatch_id 0
		.amdhsa_user_sgpr_kernarg_preload_length 0
		.amdhsa_user_sgpr_kernarg_preload_offset 0
		.amdhsa_user_sgpr_private_segment_size 0
		.amdhsa_wavefront_size32 1
		.amdhsa_uses_dynamic_stack 0
		.amdhsa_enable_private_segment 0
		.amdhsa_system_sgpr_workgroup_id_x 1
		.amdhsa_system_sgpr_workgroup_id_y 0
		.amdhsa_system_sgpr_workgroup_id_z 1
		.amdhsa_system_sgpr_workgroup_info 0
		.amdhsa_system_vgpr_workitem_id 0
		.amdhsa_next_free_vgpr 8
		.amdhsa_next_free_sgpr 22
		.amdhsa_named_barrier_count 0
		.amdhsa_reserve_vcc 1
		.amdhsa_float_round_mode_32 0
		.amdhsa_float_round_mode_16_64 0
		.amdhsa_float_denorm_mode_32 3
		.amdhsa_float_denorm_mode_16_64 3
		.amdhsa_fp16_overflow 0
		.amdhsa_memory_ordered 1
		.amdhsa_forward_progress 1
		.amdhsa_inst_pref_size 3
		.amdhsa_round_robin_scheduling 0
		.amdhsa_exception_fp_ieee_invalid_op 0
		.amdhsa_exception_fp_denorm_src 0
		.amdhsa_exception_fp_ieee_div_zero 0
		.amdhsa_exception_fp_ieee_overflow 0
		.amdhsa_exception_fp_ieee_underflow 0
		.amdhsa_exception_fp_ieee_inexact 0
		.amdhsa_exception_int_div_zero 0
	.end_amdhsa_kernel
	.section	.text._ZL19rocblas_copy_kernelIiLi256EPdS0_EviT1_lT_lT2_lS2_li,"axG",@progbits,_ZL19rocblas_copy_kernelIiLi256EPdS0_EviT1_lT_lT2_lS2_li,comdat
.Lfunc_end5:
	.size	_ZL19rocblas_copy_kernelIiLi256EPdS0_EviT1_lT_lT2_lS2_li, .Lfunc_end5-_ZL19rocblas_copy_kernelIiLi256EPdS0_EviT1_lT_lT2_lS2_li
                                        ; -- End function
	.set _ZL19rocblas_copy_kernelIiLi256EPdS0_EviT1_lT_lT2_lS2_li.num_vgpr, 8
	.set _ZL19rocblas_copy_kernelIiLi256EPdS0_EviT1_lT_lT2_lS2_li.num_agpr, 0
	.set _ZL19rocblas_copy_kernelIiLi256EPdS0_EviT1_lT_lT2_lS2_li.numbered_sgpr, 22
	.set _ZL19rocblas_copy_kernelIiLi256EPdS0_EviT1_lT_lT2_lS2_li.num_named_barrier, 0
	.set _ZL19rocblas_copy_kernelIiLi256EPdS0_EviT1_lT_lT2_lS2_li.private_seg_size, 0
	.set _ZL19rocblas_copy_kernelIiLi256EPdS0_EviT1_lT_lT2_lS2_li.uses_vcc, 1
	.set _ZL19rocblas_copy_kernelIiLi256EPdS0_EviT1_lT_lT2_lS2_li.uses_flat_scratch, 0
	.set _ZL19rocblas_copy_kernelIiLi256EPdS0_EviT1_lT_lT2_lS2_li.has_dyn_sized_stack, 0
	.set _ZL19rocblas_copy_kernelIiLi256EPdS0_EviT1_lT_lT2_lS2_li.has_recursion, 0
	.set _ZL19rocblas_copy_kernelIiLi256EPdS0_EviT1_lT_lT2_lS2_li.has_indirect_call, 0
	.section	.AMDGPU.csdata,"",@progbits
; Kernel info:
; codeLenInByte = 356
; TotalNumSgprs: 24
; NumVgprs: 8
; ScratchSize: 0
; MemoryBound: 0
; FloatMode: 240
; IeeeMode: 1
; LDSByteSize: 0 bytes/workgroup (compile time only)
; SGPRBlocks: 0
; VGPRBlocks: 0
; NumSGPRsForWavesPerEU: 24
; NumVGPRsForWavesPerEU: 8
; NamedBarCnt: 0
; Occupancy: 16
; WaveLimiterHint : 0
; COMPUTE_PGM_RSRC2:SCRATCH_EN: 0
; COMPUTE_PGM_RSRC2:USER_SGPR: 2
; COMPUTE_PGM_RSRC2:TRAP_HANDLER: 0
; COMPUTE_PGM_RSRC2:TGID_X_EN: 1
; COMPUTE_PGM_RSRC2:TGID_Y_EN: 0
; COMPUTE_PGM_RSRC2:TGID_Z_EN: 1
; COMPUTE_PGM_RSRC2:TIDIG_COMP_CNT: 0
	.section	.text._ZL20rocblas_tbmvx_kernelILi64ELi16EPKdPdEv18rocblas_operation_bbiiT1_lllS4_T2_llli,"axG",@progbits,_ZL20rocblas_tbmvx_kernelILi64ELi16EPKdPdEv18rocblas_operation_bbiiT1_lllS4_T2_llli,comdat
	.globl	_ZL20rocblas_tbmvx_kernelILi64ELi16EPKdPdEv18rocblas_operation_bbiiT1_lllS4_T2_llli ; -- Begin function _ZL20rocblas_tbmvx_kernelILi64ELi16EPKdPdEv18rocblas_operation_bbiiT1_lllS4_T2_llli
	.p2align	8
	.type	_ZL20rocblas_tbmvx_kernelILi64ELi16EPKdPdEv18rocblas_operation_bbiiT1_lllS4_T2_llli,@function
_ZL20rocblas_tbmvx_kernelILi64ELi16EPKdPdEv18rocblas_operation_bbiiT1_lllS4_T2_llli: ; @_ZL20rocblas_tbmvx_kernelILi64ELi16EPKdPdEv18rocblas_operation_bbiiT1_lllS4_T2_llli
; %bb.0:
	s_load_b64 s[2:3], s[0:1], 0x6c
	s_wait_kmcnt 0x0
	s_lshr_b32 s4, s2, 16
	s_and_b32 s2, s2, 0xffff
	s_and_b32 s3, s3, 0xffff
	s_mul_i32 s4, s4, s2
	s_delay_alu instid0(SALU_CYCLE_1) | instskip(NEXT) | instid1(SALU_CYCLE_1)
	s_mul_i32 s4, s4, s3
	s_cmp_lg_u32 s4, 0x400
	s_cbranch_scc1 .LBB6_63
; %bb.1:
	s_load_b32 s3, s[0:1], 0x58
	s_bfe_u32 s4, ttmp6, 0x40014
	s_lshr_b32 s5, ttmp7, 16
	s_add_co_i32 s4, s4, 1
	s_bfe_u32 s6, ttmp6, 0x40008
	s_mul_i32 s4, s5, s4
	s_getreg_b32 s30, hwreg(HW_REG_IB_STS2, 6, 4)
	s_add_co_i32 s6, s6, s4
	s_cmp_eq_u32 s30, 0
	s_mov_b32 s25, 0
	s_cselect_b32 s24, s5, s6
	s_wait_kmcnt 0x0
	s_cmp_ge_u32 s24, s3
	s_cbranch_scc1 .LBB6_63
; %bb.2:
	s_clause 0x2
	s_load_b512 s[4:19], s[0:1], 0x10
	s_load_b64 s[28:29], s[0:1], 0x0
	s_load_b96 s[20:22], s[0:1], 0x4
	v_and_b32_e32 v1, 0x3ff, v0
	v_bfe_u32 v0, v0, 10, 10
	v_mov_b32_e32 v5, 0
	s_delay_alu instid0(VALU_DEP_2) | instskip(NEXT) | instid1(VALU_DEP_1)
	v_mad_u32_u24 v4, v0, s2, v1
	v_dual_mov_b32 v7, v5 :: v_dual_lshrrev_b32 v6, 6, v4
	v_lshlrev_b32_e32 v9, 3, v4
	v_cmp_gt_u32_e32 vcc_lo, 64, v4
	s_wait_kmcnt 0x0
	s_lshl_b64 s[26:27], s[6:7], 3
	s_bitcmp1_b32 s29, 0
	v_mul_u64_e32 v[16:17], s[8:9], v[6:7]
	s_cselect_b32 s29, -1, 0
	s_delay_alu instid0(SALU_CYCLE_1)
	s_and_b32 s6, s29, exec_lo
	s_cselect_b32 s31, s22, 0
	s_xor_b32 s23, s29, -1
	s_bitcmp1_b32 s20, 8
	s_cselect_b32 s36, -1, 0
	s_bfe_u32 s2, ttmp6, 0x4000c
	s_and_b32 s6, ttmp6, 15
	s_add_co_i32 s2, s2, 1
	s_lshl_b64 s[34:35], s[16:17], 3
	s_mul_i32 s2, ttmp9, s2
	s_ashr_i32 s7, s21, 31
	s_add_co_i32 s6, s6, s2
	s_cmp_eq_u32 s30, 0
	s_load_b64 s[16:17], s[0:1], 0x50
	s_cselect_b32 s2, ttmp9, s6
	s_wait_xcnt 0x0
	v_cmp_gt_i64_e64 s1, s[8:9], v[6:7]
	s_lshl_b32 s20, s2, 6
	s_delay_alu instid0(SALU_CYCLE_1)
	v_dual_add_nc_u32 v10, s20, v4 :: v_dual_bitop2_b32 v8, 63, v4 bitop3:0x40
	v_lshlrev_b32_e32 v4, 3, v6
	v_cmp_ge_i32_e64 s2, s22, v6
	s_cmp_lg_u32 s28, 0x6f
	v_dual_ashrrev_i32 v11, 31, v10 :: v_dual_bitop2_b32 v0, s20, v8 bitop3:0x54
	v_add3_u32 v18, s31, s20, v8
	s_cselect_b32 s20, -1, 0
	s_add_nc_u64 s[34:35], s[14:15], s[34:35]
	s_delay_alu instid0(VALU_DEP_2)
	v_ashrrev_i32_e32 v1, 31, v0
	v_mul_u64_e32 v[12:13], s[18:19], v[10:11]
	s_add_nc_u64 s[18:19], s[4:5], s[26:27]
	v_cmp_gt_i32_e64 s0, s21, v6
	v_xad_u32 v30, v0, -1, s21
	v_mul_u64_e32 v[2:3], s[8:9], v[0:1]
	v_dual_sub_nc_u32 v31, s22, v0 :: v_dual_sub_nc_u32 v32, v18, v6
	v_subrev_nc_u32_e32 v8, s22, v0
	s_and_b32 s33, s2, s1
	s_and_b32 s1, s29, s36
	s_xor_b32 s36, s36, -1
	s_xor_b32 s37, s1, -1
	s_cmp_lg_u32 s22, 0
	v_cmp_gt_i32_e64 s2, s21, v10
	s_cselect_b32 s14, -1, 0
	v_cmp_gt_i32_e64 s1, s21, v0
	s_mov_b32 s6, s21
	s_mov_b32 s30, s22
	s_ashr_i32 s31, s22, 31
	s_and_b32 s39, vcc_lo, s2
	v_lshl_add_u64 v[16:17], v[16:17], 3, s[18:19]
	v_lshl_add_u64 v[10:11], v[12:13], 3, s[34:35]
	;; [unrolled: 1-line block ×3, first 2 shown]
	s_and_b32 s26, s29, s14
	s_lshl_b64 s[14:15], s[10:11], 3
	s_nor_b32 s38, s26, s36
	s_lshl_b64 s[26:27], s[8:9], 7
	v_add_nc_u64_e32 v[14:15], v[14:15], v[4:5]
	s_lshl_b64 s[28:29], s[30:31], 3
	s_delay_alu instid0(VALU_DEP_1)
	v_add_nc_u64_e32 v[12:13], s[4:5], v[14:15]
	v_add_nc_u64_e32 v[14:15], s[12:13], v[4:5]
	s_lshl_b64 s[4:5], s[6:7], 3
	s_branch .LBB6_4
.LBB6_3:                                ;   in Loop: Header=BB6_4 Depth=1
	s_wait_xcnt 0x0
	s_or_b32 exec_lo, exec_lo, s2
	s_add_co_i32 s24, s24, 0x10000
	s_delay_alu instid0(SALU_CYCLE_1)
	s_cmp_lt_u32 s24, s3
	s_cbranch_scc0 .LBB6_63
.LBB6_4:                                ; =>This Loop Header: Depth=1
                                        ;     Child Loop BB6_12 Depth 2
                                        ;     Child Loop BB6_40 Depth 2
	s_mul_u64 s[30:31], s[14:15], s[24:25]
	s_and_b32 vcc_lo, exec_lo, s20
	s_mov_b32 s2, -1
                                        ; implicit-def: $vgpr18_vgpr19
	s_cbranch_vccz .LBB6_35
; %bb.5:                                ;   in Loop: Header=BB6_4 Depth=1
	v_mov_b64_e32 v[18:19], 0
	s_and_saveexec_b32 s40, s33
	s_cbranch_execz .LBB6_34
; %bb.6:                                ;   in Loop: Header=BB6_4 Depth=1
	s_mul_u64 s[34:35], s[10:11], s[24:25]
	s_mul_u64 s[42:43], s[24:25], s[6:7]
	s_lshl_b64 s[34:35], s[34:35], 3
	s_lshl_b64 s[42:43], s[42:43], 3
	v_add_nc_u64_e32 v[20:21], s[30:31], v[12:13]
	s_add_nc_u64 s[44:45], s[18:19], s[34:35]
	s_add_nc_u64 s[34:35], s[12:13], s[42:43]
	v_mov_b64_e32 v[18:19], 0
	v_mov_b64_e32 v[26:27], v[6:7]
	v_lshl_add_u64 v[22:23], v[2:3], 3, s[44:45]
	v_lshl_add_u64 v[24:25], v[0:1], 3, s[34:35]
	s_mov_b32 s41, 0
	s_branch .LBB6_12
.LBB6_7:                                ;   in Loop: Header=BB6_12 Depth=2
	s_delay_alu instid0(VALU_DEP_1)
	v_mov_b64_e32 v[18:19], v[28:29]
.LBB6_8:                                ;   in Loop: Header=BB6_12 Depth=2
	s_wait_xcnt 0x0
	s_or_b32 exec_lo, exec_lo, s43
.LBB6_9:                                ;   in Loop: Header=BB6_12 Depth=2
	s_delay_alu instid0(SALU_CYCLE_1) | instskip(NEXT) | instid1(VALU_DEP_1)
	s_or_b32 exec_lo, exec_lo, s2
	v_mov_b64_e32 v[28:29], v[18:19]
.LBB6_10:                               ;   in Loop: Header=BB6_12 Depth=2
	s_delay_alu instid0(VALU_DEP_1)
	v_mov_b64_e32 v[18:19], v[28:29]
.LBB6_11:                               ;   in Loop: Header=BB6_12 Depth=2
	s_or_b32 exec_lo, exec_lo, s42
	v_add_nc_u64_e32 v[26:27], 16, v[26:27]
	v_add_nc_u64_e32 v[20:21], 0x80, v[20:21]
	s_delay_alu instid0(VALU_DEP_2) | instskip(SKIP_1) | instid1(VALU_DEP_2)
	v_mov_b32_e32 v4, v26
	v_cmp_lt_i32_e64 s2, s22, v26
	v_cmp_le_u64_e32 vcc_lo, s[8:9], v[4:5]
	s_or_b32 s2, s2, vcc_lo
	s_delay_alu instid0(SALU_CYCLE_1) | instskip(NEXT) | instid1(SALU_CYCLE_1)
	s_and_b32 s2, exec_lo, s2
	s_or_b32 s41, s2, s41
	s_delay_alu instid0(SALU_CYCLE_1)
	s_and_not1_b32 exec_lo, exec_lo, s41
	s_cbranch_execz .LBB6_33
.LBB6_12:                               ;   Parent Loop BB6_4 Depth=1
                                        ; =>  This Inner Loop Header: Depth=2
	s_and_saveexec_b32 s42, s1
	s_cbranch_execz .LBB6_11
; %bb.13:                               ;   in Loop: Header=BB6_12 Depth=2
	s_and_b32 vcc_lo, exec_lo, s23
	s_mov_b32 s2, -1
                                        ; implicit-def: $vgpr28_vgpr29
	s_cbranch_vccz .LBB6_24
; %bb.14:                               ;   in Loop: Header=BB6_12 Depth=2
	v_cmp_eq_u64_e32 vcc_lo, 0, v[26:27]
	v_cmp_lt_i32_e64 s2, v30, v26
                                        ; implicit-def: $vgpr28_vgpr29
	s_or_b32 s2, vcc_lo, s2
	s_delay_alu instid0(SALU_CYCLE_1) | instskip(NEXT) | instid1(SALU_CYCLE_1)
	s_and_saveexec_b32 s43, s2
	s_xor_b32 s2, exec_lo, s43
	s_cbranch_execz .LBB6_21
; %bb.15:                               ;   in Loop: Header=BB6_12 Depth=2
	v_mov_b64_e32 v[28:29], v[18:19]
	s_mov_b32 s43, exec_lo
	v_cmpx_eq_u64_e32 0, v[26:27]
	s_cbranch_execz .LBB6_20
; %bb.16:                               ;   in Loop: Header=BB6_12 Depth=2
	s_and_b32 vcc_lo, exec_lo, s36
	s_mov_b32 s44, -1
                                        ; implicit-def: $vgpr28_vgpr29
	s_cbranch_vccz .LBB6_18
; %bb.17:                               ;   in Loop: Header=BB6_12 Depth=2
	global_load_b64 v[28:29], v[22:23], off
	global_load_b64 v[34:35], v[24:25], off
	s_mov_b32 s44, 0
	s_wait_loadcnt 0x0
	v_fma_f64 v[28:29], v[28:29], v[34:35], v[18:19]
.LBB6_18:                               ;   in Loop: Header=BB6_12 Depth=2
	s_and_not1_b32 vcc_lo, exec_lo, s44
	s_cbranch_vccnz .LBB6_20
; %bb.19:                               ;   in Loop: Header=BB6_12 Depth=2
	global_load_b64 v[28:29], v[24:25], off
	s_wait_loadcnt 0x0
	v_add_f64_e32 v[28:29], v[18:19], v[28:29]
.LBB6_20:                               ;   in Loop: Header=BB6_12 Depth=2
	s_wait_xcnt 0x0
	s_or_b32 exec_lo, exec_lo, s43
.LBB6_21:                               ;   in Loop: Header=BB6_12 Depth=2
	s_and_not1_saveexec_b32 s2, s2
	s_cbranch_execz .LBB6_23
; %bb.22:                               ;   in Loop: Header=BB6_12 Depth=2
	v_add_nc_u32_e32 v4, v0, v26
	global_load_b64 v[28:29], v[20:21], off
	global_load_b64 v[34:35], v4, s[34:35] scale_offset
	s_wait_loadcnt 0x0
	v_fma_f64 v[28:29], v[28:29], v[34:35], v[18:19]
.LBB6_23:                               ;   in Loop: Header=BB6_12 Depth=2
	s_wait_xcnt 0x0
	s_or_b32 exec_lo, exec_lo, s2
	s_mov_b32 s2, 0
.LBB6_24:                               ;   in Loop: Header=BB6_12 Depth=2
	s_delay_alu instid0(SALU_CYCLE_1)
	s_and_not1_b32 vcc_lo, exec_lo, s2
	s_cbranch_vccnz .LBB6_10
; %bb.25:                               ;   in Loop: Header=BB6_12 Depth=2
	v_cmp_gt_i32_e32 vcc_lo, s22, v26
	v_cmp_le_i32_e64 s2, v31, v26
	s_and_b32 s2, vcc_lo, s2
	s_delay_alu instid0(SALU_CYCLE_1) | instskip(NEXT) | instid1(SALU_CYCLE_1)
	s_and_saveexec_b32 s43, s2
	s_xor_b32 s2, exec_lo, s43
	s_cbranch_execz .LBB6_27
; %bb.26:                               ;   in Loop: Header=BB6_12 Depth=2
	v_add_nc_u32_e32 v4, v8, v26
	global_load_b64 v[28:29], v[20:21], off
	global_load_b64 v[34:35], v4, s[34:35] scale_offset
	s_wait_loadcnt 0x0
	v_fmac_f64_e32 v[18:19], v[28:29], v[34:35]
.LBB6_27:                               ;   in Loop: Header=BB6_12 Depth=2
	s_wait_xcnt 0x0
	s_and_not1_saveexec_b32 s2, s2
	s_cbranch_execz .LBB6_9
; %bb.28:                               ;   in Loop: Header=BB6_12 Depth=2
	s_mov_b32 s43, exec_lo
	v_cmpx_eq_u32_e64 s22, v26
	s_cbranch_execz .LBB6_8
; %bb.29:                               ;   in Loop: Header=BB6_12 Depth=2
	s_and_b32 vcc_lo, exec_lo, s36
	s_mov_b32 s44, -1
                                        ; implicit-def: $vgpr28_vgpr29
	s_cbranch_vccz .LBB6_31
; %bb.30:                               ;   in Loop: Header=BB6_12 Depth=2
	global_load_b64 v[28:29], v[20:21], off
	global_load_b64 v[34:35], v[24:25], off
	s_mov_b32 s44, 0
	s_wait_loadcnt 0x0
	v_fma_f64 v[28:29], v[28:29], v[34:35], v[18:19]
.LBB6_31:                               ;   in Loop: Header=BB6_12 Depth=2
	s_and_not1_b32 vcc_lo, exec_lo, s44
	s_cbranch_vccnz .LBB6_7
; %bb.32:                               ;   in Loop: Header=BB6_12 Depth=2
	global_load_b64 v[28:29], v[24:25], off
	s_wait_loadcnt 0x0
	v_add_f64_e32 v[28:29], v[18:19], v[28:29]
	s_branch .LBB6_7
.LBB6_33:                               ;   in Loop: Header=BB6_4 Depth=1
	s_or_b32 exec_lo, exec_lo, s41
.LBB6_34:                               ;   in Loop: Header=BB6_4 Depth=1
	s_delay_alu instid0(SALU_CYCLE_1)
	s_or_b32 exec_lo, exec_lo, s40
	s_mov_b32 s2, 0
.LBB6_35:                               ;   in Loop: Header=BB6_4 Depth=1
	s_delay_alu instid0(SALU_CYCLE_1)
	s_and_not1_b32 vcc_lo, exec_lo, s2
	s_cbranch_vccnz .LBB6_61
; %bb.36:                               ;   in Loop: Header=BB6_4 Depth=1
	v_mov_b64_e32 v[18:19], 0
	s_and_saveexec_b32 s34, s0
	s_cbranch_execz .LBB6_60
; %bb.37:                               ;   in Loop: Header=BB6_4 Depth=1
	v_mad_nc_u64_u32 v[20:21], s4, s24, v[14:15]
	v_add_nc_u64_e32 v[22:23], s[30:31], v[16:17]
	v_mov_b64_e32 v[18:19], 0
	v_dual_mov_b32 v4, v32 :: v_dual_mov_b32 v26, v6
	s_mov_b32 s30, 0
	s_delay_alu instid0(VALU_DEP_4)
	v_mad_u32 v21, s5, s24, v21
	s_branch .LBB6_40
.LBB6_38:                               ;   in Loop: Header=BB6_40 Depth=2
	s_wait_xcnt 0x0
	s_or_b32 exec_lo, exec_lo, s2
.LBB6_39:                               ;   in Loop: Header=BB6_40 Depth=2
	s_delay_alu instid0(SALU_CYCLE_1) | instskip(SKIP_1) | instid1(VALU_DEP_2)
	s_or_b32 exec_lo, exec_lo, s31
	v_dual_add_nc_u32 v26, 16, v26 :: v_dual_add_nc_u32 v4, -16, v4
	v_add_nc_u64_e32 v[20:21], 0x80, v[20:21]
	v_add_nc_u64_e32 v[22:23], s[26:27], v[22:23]
	s_delay_alu instid0(VALU_DEP_3) | instskip(SKIP_1) | instid1(SALU_CYCLE_1)
	v_cmp_le_i32_e32 vcc_lo, s21, v26
	s_or_b32 s30, vcc_lo, s30
	s_and_not1_b32 exec_lo, exec_lo, s30
	s_cbranch_execz .LBB6_59
.LBB6_40:                               ;   Parent Loop BB6_4 Depth=1
                                        ; =>  This Inner Loop Header: Depth=2
	s_and_saveexec_b32 s31, s1
	s_cbranch_execz .LBB6_39
; %bb.41:                               ;   in Loop: Header=BB6_40 Depth=2
	v_cmp_le_i32_e32 vcc_lo, s22, v4
	v_cmp_gt_i32_e64 s2, 1, v4
	s_or_b32 s2, vcc_lo, s2
	s_delay_alu instid0(SALU_CYCLE_1) | instskip(NEXT) | instid1(SALU_CYCLE_1)
	s_and_saveexec_b32 s35, s2
	s_xor_b32 s2, exec_lo, s35
	s_cbranch_execz .LBB6_57
; %bb.42:                               ;   in Loop: Header=BB6_40 Depth=2
	s_mov_b32 s35, exec_lo
	v_cmpx_ne_u32_e32 0, v4
	s_xor_b32 s35, exec_lo, s35
	s_cbranch_execz .LBB6_50
; %bb.43:                               ;   in Loop: Header=BB6_40 Depth=2
	s_mov_b32 s40, exec_lo
	v_cmpx_eq_u32_e64 s22, v4
	s_cbranch_execz .LBB6_49
; %bb.44:                               ;   in Loop: Header=BB6_40 Depth=2
	s_and_b32 vcc_lo, exec_lo, s37
	s_mov_b32 s41, -1
                                        ; implicit-def: $vgpr24_vgpr25
	s_cbranch_vccz .LBB6_46
; %bb.45:                               ;   in Loop: Header=BB6_40 Depth=2
	v_add_nc_u64_e32 v[24:25], s[28:29], v[22:23]
	s_mov_b32 s41, 0
	global_load_b64 v[28:29], v[24:25], off
	global_load_b64 v[34:35], v[20:21], off
	s_wait_loadcnt 0x0
	s_wait_xcnt 0x1
	v_fma_f64 v[24:25], v[28:29], v[34:35], v[18:19]
.LBB6_46:                               ;   in Loop: Header=BB6_40 Depth=2
	s_and_not1_b32 vcc_lo, exec_lo, s41
	s_cbranch_vccnz .LBB6_48
; %bb.47:                               ;   in Loop: Header=BB6_40 Depth=2
	global_load_b64 v[24:25], v[20:21], off
	s_wait_loadcnt 0x0
	v_add_f64_e32 v[24:25], v[18:19], v[24:25]
.LBB6_48:                               ;   in Loop: Header=BB6_40 Depth=2
	s_delay_alu instid0(VALU_DEP_1)
	v_mov_b64_e32 v[18:19], v[24:25]
.LBB6_49:                               ;   in Loop: Header=BB6_40 Depth=2
	s_wait_xcnt 0x0
	s_or_b32 exec_lo, exec_lo, s40
.LBB6_50:                               ;   in Loop: Header=BB6_40 Depth=2
	s_and_not1_saveexec_b32 s35, s35
	s_cbranch_execz .LBB6_56
; %bb.51:                               ;   in Loop: Header=BB6_40 Depth=2
	s_and_not1_b32 vcc_lo, exec_lo, s38
	s_mov_b32 s40, -1
                                        ; implicit-def: $vgpr24_vgpr25
	s_cbranch_vccnz .LBB6_53
; %bb.52:                               ;   in Loop: Header=BB6_40 Depth=2
	global_load_b64 v[24:25], v[20:21], off
	s_mov_b32 s40, 0
	s_wait_loadcnt 0x0
	v_add_f64_e32 v[24:25], v[18:19], v[24:25]
.LBB6_53:                               ;   in Loop: Header=BB6_40 Depth=2
	s_and_not1_b32 vcc_lo, exec_lo, s40
	s_cbranch_vccnz .LBB6_55
; %bb.54:                               ;   in Loop: Header=BB6_40 Depth=2
	global_load_b64 v[24:25], v[22:23], off
	global_load_b64 v[28:29], v[20:21], off
	s_wait_loadcnt 0x0
	v_fmac_f64_e32 v[18:19], v[24:25], v[28:29]
	s_delay_alu instid0(VALU_DEP_1)
	v_mov_b64_e32 v[24:25], v[18:19]
.LBB6_55:                               ;   in Loop: Header=BB6_40 Depth=2
	s_delay_alu instid0(VALU_DEP_1)
	v_mov_b64_e32 v[18:19], v[24:25]
.LBB6_56:                               ;   in Loop: Header=BB6_40 Depth=2
	s_wait_xcnt 0x0
	s_or_b32 exec_lo, exec_lo, s35
.LBB6_57:                               ;   in Loop: Header=BB6_40 Depth=2
	s_and_not1_saveexec_b32 s2, s2
	s_cbranch_execz .LBB6_38
; %bb.58:                               ;   in Loop: Header=BB6_40 Depth=2
	v_lshl_add_u64 v[24:25], v[4:5], 3, v[22:23]
	global_load_b64 v[28:29], v[24:25], off
	global_load_b64 v[34:35], v[20:21], off
	s_wait_loadcnt 0x0
	v_fmac_f64_e32 v[18:19], v[28:29], v[34:35]
	s_branch .LBB6_38
.LBB6_59:                               ;   in Loop: Header=BB6_4 Depth=1
	s_or_b32 exec_lo, exec_lo, s30
.LBB6_60:                               ;   in Loop: Header=BB6_4 Depth=1
	s_delay_alu instid0(SALU_CYCLE_1)
	s_or_b32 exec_lo, exec_lo, s34
.LBB6_61:                               ;   in Loop: Header=BB6_4 Depth=1
	ds_store_b64 v9, v[18:19]
	s_wait_dscnt 0x0
	s_barrier_signal -1
	s_barrier_wait -1
	s_and_saveexec_b32 s2, s39
	s_cbranch_execz .LBB6_3
; %bb.62:                               ;   in Loop: Header=BB6_4 Depth=1
	ds_load_2addr_stride64_b64 v[18:21], v9 offset1:1
	ds_load_2addr_stride64_b64 v[22:25], v9 offset0:2 offset1:3
	s_wait_kmcnt 0x0
	s_mul_u64 s[30:31], s[16:17], s[24:25]
	s_wait_dscnt 0x1
	v_add_f64_e32 v[18:19], v[18:19], v[20:21]
	s_wait_dscnt 0x0
	s_delay_alu instid0(VALU_DEP_1) | instskip(NEXT) | instid1(VALU_DEP_1)
	v_add_f64_e32 v[18:19], v[22:23], v[18:19]
	v_add_f64_e32 v[26:27], v[24:25], v[18:19]
	ds_load_2addr_stride64_b64 v[18:21], v9 offset0:4 offset1:5
	ds_load_2addr_stride64_b64 v[22:25], v9 offset0:6 offset1:7
	s_wait_dscnt 0x1
	v_add_f64_e32 v[18:19], v[18:19], v[26:27]
	s_delay_alu instid0(VALU_DEP_1) | instskip(SKIP_1) | instid1(VALU_DEP_1)
	v_add_f64_e32 v[18:19], v[20:21], v[18:19]
	s_wait_dscnt 0x0
	v_add_f64_e32 v[18:19], v[22:23], v[18:19]
	s_delay_alu instid0(VALU_DEP_1) | instskip(SKIP_4) | instid1(VALU_DEP_1)
	v_add_f64_e32 v[26:27], v[24:25], v[18:19]
	ds_load_2addr_stride64_b64 v[18:21], v9 offset0:8 offset1:9
	ds_load_2addr_stride64_b64 v[22:25], v9 offset0:10 offset1:11
	s_wait_dscnt 0x1
	v_add_f64_e32 v[18:19], v[18:19], v[26:27]
	v_add_f64_e32 v[18:19], v[20:21], v[18:19]
	s_wait_dscnt 0x0
	s_delay_alu instid0(VALU_DEP_1) | instskip(NEXT) | instid1(VALU_DEP_1)
	v_add_f64_e32 v[18:19], v[22:23], v[18:19]
	v_add_f64_e32 v[26:27], v[24:25], v[18:19]
	ds_load_2addr_stride64_b64 v[18:21], v9 offset0:12 offset1:13
	ds_load_2addr_stride64_b64 v[22:25], v9 offset0:14 offset1:15
	s_wait_dscnt 0x1
	v_add_f64_e32 v[18:19], v[18:19], v[26:27]
	s_delay_alu instid0(VALU_DEP_1) | instskip(SKIP_2) | instid1(VALU_DEP_2)
	v_add_f64_e32 v[18:19], v[20:21], v[18:19]
	v_lshl_add_u64 v[20:21], s[30:31], 3, v[10:11]
	s_wait_dscnt 0x0
	v_add_f64_e32 v[18:19], v[22:23], v[18:19]
	s_delay_alu instid0(VALU_DEP_1)
	v_add_f64_e32 v[18:19], v[24:25], v[18:19]
	ds_store_b64 v9, v[18:19]
	global_store_b64 v[20:21], v[18:19], off
	s_branch .LBB6_3
.LBB6_63:
	s_endpgm
	.section	.rodata,"a",@progbits
	.p2align	6, 0x0
	.amdhsa_kernel _ZL20rocblas_tbmvx_kernelILi64ELi16EPKdPdEv18rocblas_operation_bbiiT1_lllS4_T2_llli
		.amdhsa_group_segment_fixed_size 8192
		.amdhsa_private_segment_fixed_size 0
		.amdhsa_kernarg_size 352
		.amdhsa_user_sgpr_count 2
		.amdhsa_user_sgpr_dispatch_ptr 0
		.amdhsa_user_sgpr_queue_ptr 0
		.amdhsa_user_sgpr_kernarg_segment_ptr 1
		.amdhsa_user_sgpr_dispatch_id 0
		.amdhsa_user_sgpr_kernarg_preload_length 0
		.amdhsa_user_sgpr_kernarg_preload_offset 0
		.amdhsa_user_sgpr_private_segment_size 0
		.amdhsa_wavefront_size32 1
		.amdhsa_uses_dynamic_stack 0
		.amdhsa_enable_private_segment 0
		.amdhsa_system_sgpr_workgroup_id_x 1
		.amdhsa_system_sgpr_workgroup_id_y 0
		.amdhsa_system_sgpr_workgroup_id_z 1
		.amdhsa_system_sgpr_workgroup_info 0
		.amdhsa_system_vgpr_workitem_id 1
		.amdhsa_next_free_vgpr 36
		.amdhsa_next_free_sgpr 46
		.amdhsa_named_barrier_count 0
		.amdhsa_reserve_vcc 1
		.amdhsa_float_round_mode_32 0
		.amdhsa_float_round_mode_16_64 0
		.amdhsa_float_denorm_mode_32 3
		.amdhsa_float_denorm_mode_16_64 3
		.amdhsa_fp16_overflow 0
		.amdhsa_memory_ordered 1
		.amdhsa_forward_progress 1
		.amdhsa_inst_pref_size 15
		.amdhsa_round_robin_scheduling 0
		.amdhsa_exception_fp_ieee_invalid_op 0
		.amdhsa_exception_fp_denorm_src 0
		.amdhsa_exception_fp_ieee_div_zero 0
		.amdhsa_exception_fp_ieee_overflow 0
		.amdhsa_exception_fp_ieee_underflow 0
		.amdhsa_exception_fp_ieee_inexact 0
		.amdhsa_exception_int_div_zero 0
	.end_amdhsa_kernel
	.section	.text._ZL20rocblas_tbmvx_kernelILi64ELi16EPKdPdEv18rocblas_operation_bbiiT1_lllS4_T2_llli,"axG",@progbits,_ZL20rocblas_tbmvx_kernelILi64ELi16EPKdPdEv18rocblas_operation_bbiiT1_lllS4_T2_llli,comdat
.Lfunc_end6:
	.size	_ZL20rocblas_tbmvx_kernelILi64ELi16EPKdPdEv18rocblas_operation_bbiiT1_lllS4_T2_llli, .Lfunc_end6-_ZL20rocblas_tbmvx_kernelILi64ELi16EPKdPdEv18rocblas_operation_bbiiT1_lllS4_T2_llli
                                        ; -- End function
	.set _ZL20rocblas_tbmvx_kernelILi64ELi16EPKdPdEv18rocblas_operation_bbiiT1_lllS4_T2_llli.num_vgpr, 36
	.set _ZL20rocblas_tbmvx_kernelILi64ELi16EPKdPdEv18rocblas_operation_bbiiT1_lllS4_T2_llli.num_agpr, 0
	.set _ZL20rocblas_tbmvx_kernelILi64ELi16EPKdPdEv18rocblas_operation_bbiiT1_lllS4_T2_llli.numbered_sgpr, 46
	.set _ZL20rocblas_tbmvx_kernelILi64ELi16EPKdPdEv18rocblas_operation_bbiiT1_lllS4_T2_llli.num_named_barrier, 0
	.set _ZL20rocblas_tbmvx_kernelILi64ELi16EPKdPdEv18rocblas_operation_bbiiT1_lllS4_T2_llli.private_seg_size, 0
	.set _ZL20rocblas_tbmvx_kernelILi64ELi16EPKdPdEv18rocblas_operation_bbiiT1_lllS4_T2_llli.uses_vcc, 1
	.set _ZL20rocblas_tbmvx_kernelILi64ELi16EPKdPdEv18rocblas_operation_bbiiT1_lllS4_T2_llli.uses_flat_scratch, 0
	.set _ZL20rocblas_tbmvx_kernelILi64ELi16EPKdPdEv18rocblas_operation_bbiiT1_lllS4_T2_llli.has_dyn_sized_stack, 0
	.set _ZL20rocblas_tbmvx_kernelILi64ELi16EPKdPdEv18rocblas_operation_bbiiT1_lllS4_T2_llli.has_recursion, 0
	.set _ZL20rocblas_tbmvx_kernelILi64ELi16EPKdPdEv18rocblas_operation_bbiiT1_lllS4_T2_llli.has_indirect_call, 0
	.section	.AMDGPU.csdata,"",@progbits
; Kernel info:
; codeLenInByte = 1920
; TotalNumSgprs: 48
; NumVgprs: 36
; ScratchSize: 0
; MemoryBound: 1
; FloatMode: 240
; IeeeMode: 1
; LDSByteSize: 8192 bytes/workgroup (compile time only)
; SGPRBlocks: 0
; VGPRBlocks: 2
; NumSGPRsForWavesPerEU: 48
; NumVGPRsForWavesPerEU: 36
; NamedBarCnt: 0
; Occupancy: 16
; WaveLimiterHint : 1
; COMPUTE_PGM_RSRC2:SCRATCH_EN: 0
; COMPUTE_PGM_RSRC2:USER_SGPR: 2
; COMPUTE_PGM_RSRC2:TRAP_HANDLER: 0
; COMPUTE_PGM_RSRC2:TGID_X_EN: 1
; COMPUTE_PGM_RSRC2:TGID_Y_EN: 0
; COMPUTE_PGM_RSRC2:TGID_Z_EN: 1
; COMPUTE_PGM_RSRC2:TIDIG_COMP_CNT: 1
	.section	.text._ZL19rocblas_copy_kernelIlLi256EP19rocblas_complex_numIfES2_EviT1_lT_lT2_lS4_li,"axG",@progbits,_ZL19rocblas_copy_kernelIlLi256EP19rocblas_complex_numIfES2_EviT1_lT_lT2_lS4_li,comdat
	.globl	_ZL19rocblas_copy_kernelIlLi256EP19rocblas_complex_numIfES2_EviT1_lT_lT2_lS4_li ; -- Begin function _ZL19rocblas_copy_kernelIlLi256EP19rocblas_complex_numIfES2_EviT1_lT_lT2_lS4_li
	.p2align	8
	.type	_ZL19rocblas_copy_kernelIlLi256EP19rocblas_complex_numIfES2_EviT1_lT_lT2_lS4_li,@function
_ZL19rocblas_copy_kernelIlLi256EP19rocblas_complex_numIfES2_EviT1_lT_lT2_lS4_li: ; @_ZL19rocblas_copy_kernelIlLi256EP19rocblas_complex_numIfES2_EviT1_lT_lT2_lS4_li
; %bb.0:
	s_load_b32 s20, s[0:1], 0x48
	s_bfe_u32 s2, ttmp6, 0x40014
	s_lshr_b32 s3, ttmp7, 16
	s_add_co_i32 s2, s2, 1
	s_bfe_u32 s4, ttmp6, 0x40008
	s_mul_i32 s2, s3, s2
	s_getreg_b32 s21, hwreg(HW_REG_IB_STS2, 6, 4)
	s_add_co_i32 s4, s4, s2
	s_cmp_eq_u32 s21, 0
	s_cselect_b32 s2, s3, s4
	s_mov_b32 s3, 0
	s_wait_kmcnt 0x0
	s_cmp_ge_u32 s2, s20
	s_cbranch_scc1 .LBB7_5
; %bb.1:
	s_clause 0x1
	s_load_b32 s22, s[0:1], 0x0
	s_load_b512 s[4:19], s[0:1], 0x8
	s_wait_xcnt 0x0
	s_bfe_u32 s0, ttmp6, 0x4000c
	s_and_b32 s1, ttmp6, 15
	s_add_co_i32 s0, s0, 1
	v_mov_b32_e32 v1, 0
	s_mul_i32 s0, ttmp9, s0
	s_delay_alu instid0(SALU_CYCLE_1)
	s_add_co_i32 s24, s1, s0
	s_wait_kmcnt 0x0
	s_ashr_i32 s23, s22, 31
	s_lshl_b64 s[0:1], s[6:7], 3
	s_lshl_b64 s[6:7], s[14:15], 3
	s_cmp_eq_u32 s21, 0
	s_add_nc_u64 s[0:1], s[4:5], s[0:1]
	s_cselect_b32 s14, ttmp9, s24
	s_add_nc_u64 s[4:5], s[12:13], s[6:7]
	v_lshl_or_b32 v0, s14, 8, v0
	s_delay_alu instid0(VALU_DEP_1) | instskip(SKIP_2) | instid1(VALU_DEP_3)
	v_mul_u64_e32 v[2:3], s[8:9], v[0:1]
	v_mul_u64_e32 v[4:5], s[16:17], v[0:1]
	v_cmp_gt_i64_e32 vcc_lo, s[22:23], v[0:1]
	v_lshl_add_u64 v[0:1], v[2:3], 3, s[0:1]
	s_delay_alu instid0(VALU_DEP_3)
	v_lshl_add_u64 v[2:3], v[4:5], 3, s[4:5]
	s_branch .LBB7_3
.LBB7_2:                                ;   in Loop: Header=BB7_3 Depth=1
	s_wait_xcnt 0x0
	s_or_b32 exec_lo, exec_lo, s0
	s_add_co_i32 s2, s2, 0x10000
	s_delay_alu instid0(SALU_CYCLE_1)
	s_cmp_lt_u32 s2, s20
	s_cbranch_scc0 .LBB7_5
.LBB7_3:                                ; =>This Inner Loop Header: Depth=1
	s_and_saveexec_b32 s0, vcc_lo
	s_cbranch_execz .LBB7_2
; %bb.4:                                ;   in Loop: Header=BB7_3 Depth=1
	s_mul_u64 s[4:5], s[10:11], s[2:3]
	s_delay_alu instid0(SALU_CYCLE_1) | instskip(SKIP_1) | instid1(SALU_CYCLE_1)
	v_lshl_add_u64 v[4:5], s[4:5], 3, v[0:1]
	s_mul_u64 s[4:5], s[18:19], s[2:3]
	v_lshl_add_u64 v[6:7], s[4:5], 3, v[2:3]
	global_load_b64 v[4:5], v[4:5], off
	s_wait_loadcnt 0x0
	global_store_b64 v[6:7], v[4:5], off
	s_branch .LBB7_2
.LBB7_5:
	s_endpgm
	.section	.rodata,"a",@progbits
	.p2align	6, 0x0
	.amdhsa_kernel _ZL19rocblas_copy_kernelIlLi256EP19rocblas_complex_numIfES2_EviT1_lT_lT2_lS4_li
		.amdhsa_group_segment_fixed_size 0
		.amdhsa_private_segment_fixed_size 0
		.amdhsa_kernarg_size 76
		.amdhsa_user_sgpr_count 2
		.amdhsa_user_sgpr_dispatch_ptr 0
		.amdhsa_user_sgpr_queue_ptr 0
		.amdhsa_user_sgpr_kernarg_segment_ptr 1
		.amdhsa_user_sgpr_dispatch_id 0
		.amdhsa_user_sgpr_kernarg_preload_length 0
		.amdhsa_user_sgpr_kernarg_preload_offset 0
		.amdhsa_user_sgpr_private_segment_size 0
		.amdhsa_wavefront_size32 1
		.amdhsa_uses_dynamic_stack 0
		.amdhsa_enable_private_segment 0
		.amdhsa_system_sgpr_workgroup_id_x 1
		.amdhsa_system_sgpr_workgroup_id_y 0
		.amdhsa_system_sgpr_workgroup_id_z 1
		.amdhsa_system_sgpr_workgroup_info 0
		.amdhsa_system_vgpr_workitem_id 0
		.amdhsa_next_free_vgpr 8
		.amdhsa_next_free_sgpr 25
		.amdhsa_named_barrier_count 0
		.amdhsa_reserve_vcc 1
		.amdhsa_float_round_mode_32 0
		.amdhsa_float_round_mode_16_64 0
		.amdhsa_float_denorm_mode_32 3
		.amdhsa_float_denorm_mode_16_64 3
		.amdhsa_fp16_overflow 0
		.amdhsa_memory_ordered 1
		.amdhsa_forward_progress 1
		.amdhsa_inst_pref_size 3
		.amdhsa_round_robin_scheduling 0
		.amdhsa_exception_fp_ieee_invalid_op 0
		.amdhsa_exception_fp_denorm_src 0
		.amdhsa_exception_fp_ieee_div_zero 0
		.amdhsa_exception_fp_ieee_overflow 0
		.amdhsa_exception_fp_ieee_underflow 0
		.amdhsa_exception_fp_ieee_inexact 0
		.amdhsa_exception_int_div_zero 0
	.end_amdhsa_kernel
	.section	.text._ZL19rocblas_copy_kernelIlLi256EP19rocblas_complex_numIfES2_EviT1_lT_lT2_lS4_li,"axG",@progbits,_ZL19rocblas_copy_kernelIlLi256EP19rocblas_complex_numIfES2_EviT1_lT_lT2_lS4_li,comdat
.Lfunc_end7:
	.size	_ZL19rocblas_copy_kernelIlLi256EP19rocblas_complex_numIfES2_EviT1_lT_lT2_lS4_li, .Lfunc_end7-_ZL19rocblas_copy_kernelIlLi256EP19rocblas_complex_numIfES2_EviT1_lT_lT2_lS4_li
                                        ; -- End function
	.set _ZL19rocblas_copy_kernelIlLi256EP19rocblas_complex_numIfES2_EviT1_lT_lT2_lS4_li.num_vgpr, 8
	.set _ZL19rocblas_copy_kernelIlLi256EP19rocblas_complex_numIfES2_EviT1_lT_lT2_lS4_li.num_agpr, 0
	.set _ZL19rocblas_copy_kernelIlLi256EP19rocblas_complex_numIfES2_EviT1_lT_lT2_lS4_li.numbered_sgpr, 25
	.set _ZL19rocblas_copy_kernelIlLi256EP19rocblas_complex_numIfES2_EviT1_lT_lT2_lS4_li.num_named_barrier, 0
	.set _ZL19rocblas_copy_kernelIlLi256EP19rocblas_complex_numIfES2_EviT1_lT_lT2_lS4_li.private_seg_size, 0
	.set _ZL19rocblas_copy_kernelIlLi256EP19rocblas_complex_numIfES2_EviT1_lT_lT2_lS4_li.uses_vcc, 1
	.set _ZL19rocblas_copy_kernelIlLi256EP19rocblas_complex_numIfES2_EviT1_lT_lT2_lS4_li.uses_flat_scratch, 0
	.set _ZL19rocblas_copy_kernelIlLi256EP19rocblas_complex_numIfES2_EviT1_lT_lT2_lS4_li.has_dyn_sized_stack, 0
	.set _ZL19rocblas_copy_kernelIlLi256EP19rocblas_complex_numIfES2_EviT1_lT_lT2_lS4_li.has_recursion, 0
	.set _ZL19rocblas_copy_kernelIlLi256EP19rocblas_complex_numIfES2_EviT1_lT_lT2_lS4_li.has_indirect_call, 0
	.section	.AMDGPU.csdata,"",@progbits
; Kernel info:
; codeLenInByte = 304
; TotalNumSgprs: 27
; NumVgprs: 8
; ScratchSize: 0
; MemoryBound: 0
; FloatMode: 240
; IeeeMode: 1
; LDSByteSize: 0 bytes/workgroup (compile time only)
; SGPRBlocks: 0
; VGPRBlocks: 0
; NumSGPRsForWavesPerEU: 27
; NumVGPRsForWavesPerEU: 8
; NamedBarCnt: 0
; Occupancy: 16
; WaveLimiterHint : 0
; COMPUTE_PGM_RSRC2:SCRATCH_EN: 0
; COMPUTE_PGM_RSRC2:USER_SGPR: 2
; COMPUTE_PGM_RSRC2:TRAP_HANDLER: 0
; COMPUTE_PGM_RSRC2:TGID_X_EN: 1
; COMPUTE_PGM_RSRC2:TGID_Y_EN: 0
; COMPUTE_PGM_RSRC2:TGID_Z_EN: 1
; COMPUTE_PGM_RSRC2:TIDIG_COMP_CNT: 0
	.section	.text._ZL19rocblas_copy_kernelIiLi256EP19rocblas_complex_numIfES2_EviT1_lT_lT2_lS4_li,"axG",@progbits,_ZL19rocblas_copy_kernelIiLi256EP19rocblas_complex_numIfES2_EviT1_lT_lT2_lS4_li,comdat
	.globl	_ZL19rocblas_copy_kernelIiLi256EP19rocblas_complex_numIfES2_EviT1_lT_lT2_lS4_li ; -- Begin function _ZL19rocblas_copy_kernelIiLi256EP19rocblas_complex_numIfES2_EviT1_lT_lT2_lS4_li
	.p2align	8
	.type	_ZL19rocblas_copy_kernelIiLi256EP19rocblas_complex_numIfES2_EviT1_lT_lT2_lS4_li,@function
_ZL19rocblas_copy_kernelIiLi256EP19rocblas_complex_numIfES2_EviT1_lT_lT2_lS4_li: ; @_ZL19rocblas_copy_kernelIiLi256EP19rocblas_complex_numIfES2_EviT1_lT_lT2_lS4_li
; %bb.0:
	s_load_b32 s12, s[0:1], 0x48
	s_bfe_u32 s2, ttmp6, 0x40014
	s_lshr_b32 s3, ttmp7, 16
	s_add_co_i32 s2, s2, 1
	s_bfe_u32 s4, ttmp6, 0x40008
	s_mul_i32 s2, s3, s2
	s_getreg_b32 s8, hwreg(HW_REG_IB_STS2, 6, 4)
	s_add_co_i32 s4, s4, s2
	s_cmp_eq_u32 s8, 0
	s_cselect_b32 s2, s3, s4
	s_mov_b32 s3, 0
	s_wait_kmcnt 0x0
	s_cmp_ge_u32 s2, s12
	s_cbranch_scc1 .LBB8_5
; %bb.1:
	s_clause 0x3
	s_load_b32 s14, s[0:1], 0x0
	s_load_b32 s10, s[0:1], 0x18
	s_load_b96 s[16:18], s[0:1], 0x30
	s_load_b128 s[4:7], s[0:1], 0x8
	s_bfe_u32 s9, ttmp6, 0x4000c
	s_and_b32 s11, ttmp6, 15
	s_add_co_i32 s9, s9, 1
	v_mov_b32_e32 v1, 0
	s_mul_i32 s9, ttmp9, s9
	s_delay_alu instid0(SALU_CYCLE_1)
	s_add_co_i32 s13, s11, s9
	s_wait_kmcnt 0x0
	s_ashr_i32 s15, s14, 31
	s_ashr_i32 s11, s10, 31
	;; [unrolled: 1-line block ×3, first 2 shown]
	s_lshl_b64 s[20:21], s[6:7], 3
	s_lshl_b64 s[16:17], s[16:17], 3
	s_cmp_eq_u32 s8, 0
	s_mov_b32 s8, s18
	s_cselect_b32 s6, ttmp9, s13
	s_delay_alu instid0(SALU_CYCLE_1) | instskip(NEXT) | instid1(VALU_DEP_1)
	v_lshl_or_b32 v0, s6, 8, v0
	v_mul_u64_e32 v[2:3], s[10:11], v[0:1]
	v_mul_u64_e32 v[4:5], s[8:9], v[0:1]
	s_clause 0x1
	s_load_b128 s[8:11], s[0:1], 0x20
	s_load_b64 s[6:7], s[0:1], 0x40
	s_wait_xcnt 0x0
	s_add_nc_u64 s[0:1], s[4:5], s[20:21]
	v_cmp_gt_i64_e32 vcc_lo, s[14:15], v[0:1]
	s_wait_kmcnt 0x0
	s_add_nc_u64 s[4:5], s[10:11], s[16:17]
	s_delay_alu instid0(VALU_DEP_3) | instskip(NEXT) | instid1(VALU_DEP_3)
	v_lshl_add_u64 v[0:1], v[2:3], 3, s[0:1]
	v_lshl_add_u64 v[2:3], v[4:5], 3, s[4:5]
	s_branch .LBB8_3
.LBB8_2:                                ;   in Loop: Header=BB8_3 Depth=1
	s_wait_xcnt 0x0
	s_or_b32 exec_lo, exec_lo, s0
	s_add_co_i32 s2, s2, 0x10000
	s_delay_alu instid0(SALU_CYCLE_1)
	s_cmp_lt_u32 s2, s12
	s_cbranch_scc0 .LBB8_5
.LBB8_3:                                ; =>This Inner Loop Header: Depth=1
	s_and_saveexec_b32 s0, vcc_lo
	s_cbranch_execz .LBB8_2
; %bb.4:                                ;   in Loop: Header=BB8_3 Depth=1
	s_mul_u64 s[4:5], s[8:9], s[2:3]
	s_delay_alu instid0(SALU_CYCLE_1) | instskip(SKIP_1) | instid1(SALU_CYCLE_1)
	v_lshl_add_u64 v[4:5], s[4:5], 3, v[0:1]
	s_mul_u64 s[4:5], s[6:7], s[2:3]
	v_lshl_add_u64 v[6:7], s[4:5], 3, v[2:3]
	global_load_b64 v[4:5], v[4:5], off
	s_wait_loadcnt 0x0
	global_store_b64 v[6:7], v[4:5], off
	s_branch .LBB8_2
.LBB8_5:
	s_endpgm
	.section	.rodata,"a",@progbits
	.p2align	6, 0x0
	.amdhsa_kernel _ZL19rocblas_copy_kernelIiLi256EP19rocblas_complex_numIfES2_EviT1_lT_lT2_lS4_li
		.amdhsa_group_segment_fixed_size 0
		.amdhsa_private_segment_fixed_size 0
		.amdhsa_kernarg_size 76
		.amdhsa_user_sgpr_count 2
		.amdhsa_user_sgpr_dispatch_ptr 0
		.amdhsa_user_sgpr_queue_ptr 0
		.amdhsa_user_sgpr_kernarg_segment_ptr 1
		.amdhsa_user_sgpr_dispatch_id 0
		.amdhsa_user_sgpr_kernarg_preload_length 0
		.amdhsa_user_sgpr_kernarg_preload_offset 0
		.amdhsa_user_sgpr_private_segment_size 0
		.amdhsa_wavefront_size32 1
		.amdhsa_uses_dynamic_stack 0
		.amdhsa_enable_private_segment 0
		.amdhsa_system_sgpr_workgroup_id_x 1
		.amdhsa_system_sgpr_workgroup_id_y 0
		.amdhsa_system_sgpr_workgroup_id_z 1
		.amdhsa_system_sgpr_workgroup_info 0
		.amdhsa_system_vgpr_workitem_id 0
		.amdhsa_next_free_vgpr 8
		.amdhsa_next_free_sgpr 22
		.amdhsa_named_barrier_count 0
		.amdhsa_reserve_vcc 1
		.amdhsa_float_round_mode_32 0
		.amdhsa_float_round_mode_16_64 0
		.amdhsa_float_denorm_mode_32 3
		.amdhsa_float_denorm_mode_16_64 3
		.amdhsa_fp16_overflow 0
		.amdhsa_memory_ordered 1
		.amdhsa_forward_progress 1
		.amdhsa_inst_pref_size 3
		.amdhsa_round_robin_scheduling 0
		.amdhsa_exception_fp_ieee_invalid_op 0
		.amdhsa_exception_fp_denorm_src 0
		.amdhsa_exception_fp_ieee_div_zero 0
		.amdhsa_exception_fp_ieee_overflow 0
		.amdhsa_exception_fp_ieee_underflow 0
		.amdhsa_exception_fp_ieee_inexact 0
		.amdhsa_exception_int_div_zero 0
	.end_amdhsa_kernel
	.section	.text._ZL19rocblas_copy_kernelIiLi256EP19rocblas_complex_numIfES2_EviT1_lT_lT2_lS4_li,"axG",@progbits,_ZL19rocblas_copy_kernelIiLi256EP19rocblas_complex_numIfES2_EviT1_lT_lT2_lS4_li,comdat
.Lfunc_end8:
	.size	_ZL19rocblas_copy_kernelIiLi256EP19rocblas_complex_numIfES2_EviT1_lT_lT2_lS4_li, .Lfunc_end8-_ZL19rocblas_copy_kernelIiLi256EP19rocblas_complex_numIfES2_EviT1_lT_lT2_lS4_li
                                        ; -- End function
	.set _ZL19rocblas_copy_kernelIiLi256EP19rocblas_complex_numIfES2_EviT1_lT_lT2_lS4_li.num_vgpr, 8
	.set _ZL19rocblas_copy_kernelIiLi256EP19rocblas_complex_numIfES2_EviT1_lT_lT2_lS4_li.num_agpr, 0
	.set _ZL19rocblas_copy_kernelIiLi256EP19rocblas_complex_numIfES2_EviT1_lT_lT2_lS4_li.numbered_sgpr, 22
	.set _ZL19rocblas_copy_kernelIiLi256EP19rocblas_complex_numIfES2_EviT1_lT_lT2_lS4_li.num_named_barrier, 0
	.set _ZL19rocblas_copy_kernelIiLi256EP19rocblas_complex_numIfES2_EviT1_lT_lT2_lS4_li.private_seg_size, 0
	.set _ZL19rocblas_copy_kernelIiLi256EP19rocblas_complex_numIfES2_EviT1_lT_lT2_lS4_li.uses_vcc, 1
	.set _ZL19rocblas_copy_kernelIiLi256EP19rocblas_complex_numIfES2_EviT1_lT_lT2_lS4_li.uses_flat_scratch, 0
	.set _ZL19rocblas_copy_kernelIiLi256EP19rocblas_complex_numIfES2_EviT1_lT_lT2_lS4_li.has_dyn_sized_stack, 0
	.set _ZL19rocblas_copy_kernelIiLi256EP19rocblas_complex_numIfES2_EviT1_lT_lT2_lS4_li.has_recursion, 0
	.set _ZL19rocblas_copy_kernelIiLi256EP19rocblas_complex_numIfES2_EviT1_lT_lT2_lS4_li.has_indirect_call, 0
	.section	.AMDGPU.csdata,"",@progbits
; Kernel info:
; codeLenInByte = 356
; TotalNumSgprs: 24
; NumVgprs: 8
; ScratchSize: 0
; MemoryBound: 0
; FloatMode: 240
; IeeeMode: 1
; LDSByteSize: 0 bytes/workgroup (compile time only)
; SGPRBlocks: 0
; VGPRBlocks: 0
; NumSGPRsForWavesPerEU: 24
; NumVGPRsForWavesPerEU: 8
; NamedBarCnt: 0
; Occupancy: 16
; WaveLimiterHint : 0
; COMPUTE_PGM_RSRC2:SCRATCH_EN: 0
; COMPUTE_PGM_RSRC2:USER_SGPR: 2
; COMPUTE_PGM_RSRC2:TRAP_HANDLER: 0
; COMPUTE_PGM_RSRC2:TGID_X_EN: 1
; COMPUTE_PGM_RSRC2:TGID_Y_EN: 0
; COMPUTE_PGM_RSRC2:TGID_Z_EN: 1
; COMPUTE_PGM_RSRC2:TIDIG_COMP_CNT: 0
	.section	.text._ZL20rocblas_tbmvx_kernelILi64ELi16EPK19rocblas_complex_numIfEPS1_Ev18rocblas_operation_bbiiT1_lllS6_T2_llli,"axG",@progbits,_ZL20rocblas_tbmvx_kernelILi64ELi16EPK19rocblas_complex_numIfEPS1_Ev18rocblas_operation_bbiiT1_lllS6_T2_llli,comdat
	.globl	_ZL20rocblas_tbmvx_kernelILi64ELi16EPK19rocblas_complex_numIfEPS1_Ev18rocblas_operation_bbiiT1_lllS6_T2_llli ; -- Begin function _ZL20rocblas_tbmvx_kernelILi64ELi16EPK19rocblas_complex_numIfEPS1_Ev18rocblas_operation_bbiiT1_lllS6_T2_llli
	.p2align	8
	.type	_ZL20rocblas_tbmvx_kernelILi64ELi16EPK19rocblas_complex_numIfEPS1_Ev18rocblas_operation_bbiiT1_lllS6_T2_llli,@function
_ZL20rocblas_tbmvx_kernelILi64ELi16EPK19rocblas_complex_numIfEPS1_Ev18rocblas_operation_bbiiT1_lllS6_T2_llli: ; @_ZL20rocblas_tbmvx_kernelILi64ELi16EPK19rocblas_complex_numIfEPS1_Ev18rocblas_operation_bbiiT1_lllS6_T2_llli
; %bb.0:
	s_load_b64 s[2:3], s[0:1], 0x6c
	s_wait_kmcnt 0x0
	s_lshr_b32 s4, s2, 16
	s_and_b32 s2, s2, 0xffff
	s_and_b32 s3, s3, 0xffff
	s_mul_i32 s4, s4, s2
	s_delay_alu instid0(SALU_CYCLE_1) | instskip(NEXT) | instid1(SALU_CYCLE_1)
	s_mul_i32 s4, s4, s3
	s_cmp_lg_u32 s4, 0x400
	s_cbranch_scc1 .LBB9_79
; %bb.1:
	s_load_b32 s3, s[0:1], 0x58
	s_bfe_u32 s4, ttmp6, 0x40014
	s_lshr_b32 s5, ttmp7, 16
	s_add_co_i32 s4, s4, 1
	s_bfe_u32 s6, ttmp6, 0x40008
	s_mul_i32 s4, s5, s4
	s_getreg_b32 s30, hwreg(HW_REG_IB_STS2, 6, 4)
	s_add_co_i32 s6, s6, s4
	s_cmp_eq_u32 s30, 0
	s_mov_b32 s25, 0
	s_cselect_b32 s24, s5, s6
	s_wait_kmcnt 0x0
	s_cmp_ge_u32 s24, s3
	s_cbranch_scc1 .LBB9_79
; %bb.2:
	s_clause 0x2
	s_load_b512 s[4:19], s[0:1], 0x10
	s_load_b64 s[26:27], s[0:1], 0x0
	s_load_b96 s[20:22], s[0:1], 0x4
	v_and_b32_e32 v1, 0x3ff, v0
	v_bfe_u32 v0, v0, 10, 10
	v_mov_b32_e32 v5, 0
	s_delay_alu instid0(VALU_DEP_2) | instskip(NEXT) | instid1(VALU_DEP_1)
	v_mad_u32_u24 v4, v0, s2, v1
	v_dual_mov_b32 v7, v5 :: v_dual_bitop2_b32 v8, 63, v4 bitop3:0x40
	v_dual_lshrrev_b32 v6, 6, v4 :: v_dual_lshlrev_b32 v9, 3, v4
	v_cmp_gt_u32_e32 vcc_lo, 64, v4
	s_wait_kmcnt 0x0
	s_lshl_b64 s[28:29], s[6:7], 3
	s_bitcmp1_b32 s27, 0
	v_mul_u64_e32 v[16:17], s[8:9], v[6:7]
	s_cselect_b32 s27, -1, 0
	s_delay_alu instid0(SALU_CYCLE_1)
	s_and_b32 s6, s27, exec_lo
	s_cselect_b32 s31, s22, 0
	s_xor_b32 s23, s27, -1
	s_bitcmp1_b32 s20, 8
	s_cselect_b32 s37, -1, 0
	s_bfe_u32 s2, ttmp6, 0x4000c
	s_and_b32 s6, ttmp6, 15
	s_add_co_i32 s2, s2, 1
	s_lshl_b64 s[34:35], s[16:17], 3
	s_mul_i32 s2, ttmp9, s2
	s_ashr_i32 s7, s21, 31
	s_add_co_i32 s6, s6, s2
	s_cmp_eq_u32 s30, 0
	s_load_b64 s[16:17], s[0:1], 0x50
	s_cselect_b32 s2, ttmp9, s6
	s_wait_xcnt 0x0
	v_cmp_gt_i64_e64 s1, s[8:9], v[6:7]
	s_lshl_b32 s33, s2, 6
	v_cmp_ge_i32_e64 s2, s22, v6
	v_or_b32_e32 v0, s33, v8
	v_dual_add_nc_u32 v10, s33, v4 :: v_dual_lshlrev_b32 v4, 3, v6
	s_cmp_lg_u32 s26, 0x6f
	v_add3_u32 v18, s31, s33, v8
	s_delay_alu instid0(VALU_DEP_2) | instskip(SKIP_3) | instid1(VALU_DEP_1)
	v_dual_ashrrev_i32 v1, 31, v0 :: v_dual_ashrrev_i32 v11, 31, v10
	s_cselect_b32 s20, -1, 0
	s_cmp_lg_u32 s26, 0x71
	s_add_nc_u64 s[14:15], s[14:15], s[34:35]
	v_mul_u64_e32 v[2:3], s[8:9], v[0:1]
	v_mul_u64_e32 v[12:13], s[18:19], v[10:11]
	s_cselect_b32 s33, -1, 0
	s_and_b32 s36, s2, s1
	s_and_b32 s2, s27, s37
	s_xor_b32 s37, s37, -1
	s_xor_b32 s38, s2, -1
	s_cmp_lg_u32 s22, 0
	s_add_nc_u64 s[18:19], s[4:5], s[28:29]
	v_cmp_gt_i32_e64 s2, s21, v10
	s_cselect_b32 s26, -1, 0
	v_cmp_gt_i32_e64 s0, s21, v6
	v_cmp_gt_i32_e64 s1, s21, v0
	v_xad_u32 v30, v0, -1, s21
	v_dual_sub_nc_u32 v31, s22, v0 :: v_dual_sub_nc_u32 v32, v18, v6
	v_subrev_nc_u32_e32 v8, s22, v0
	s_mov_b32 s6, s21
	s_mov_b32 s30, s22
	s_ashr_i32 s31, s22, 31
	s_and_b32 s26, s27, s26
	s_and_b32 s39, vcc_lo, s2
	s_nor_b32 s40, s26, s37
	s_lshl_b64 s[26:27], s[8:9], 7
	v_lshl_add_u64 v[16:17], v[16:17], 3, s[18:19]
	v_lshl_add_u64 v[14:15], v[2:3], 3, s[28:29]
	;; [unrolled: 1-line block ×3, first 2 shown]
	s_lshl_b64 s[14:15], s[6:7], 3
	s_lshl_b64 s[28:29], s[30:31], 3
	s_delay_alu instid0(VALU_DEP_2) | instskip(NEXT) | instid1(VALU_DEP_1)
	v_add_nc_u64_e32 v[14:15], v[14:15], v[4:5]
	v_add_nc_u64_e32 v[14:15], s[4:5], v[14:15]
	s_lshl_b64 s[4:5], s[10:11], 3
	s_delay_alu instid0(VALU_DEP_1)
	v_add_nc_u64_e32 v[12:13], 4, v[14:15]
	v_add_nc_u64_e32 v[14:15], s[12:13], v[4:5]
	s_branch .LBB9_4
.LBB9_3:                                ;   in Loop: Header=BB9_4 Depth=1
	s_wait_xcnt 0x0
	s_or_b32 exec_lo, exec_lo, s2
	s_add_co_i32 s24, s24, 0x10000
	s_delay_alu instid0(SALU_CYCLE_1)
	s_cmp_lt_u32 s24, s3
	s_cbranch_scc0 .LBB9_79
.LBB9_4:                                ; =>This Loop Header: Depth=1
                                        ;     Child Loop BB9_12 Depth 2
                                        ;     Child Loop BB9_56 Depth 2
	s_mul_u64 s[30:31], s[4:5], s[24:25]
	s_and_b32 vcc_lo, exec_lo, s20
	s_mov_b32 s2, -1
                                        ; implicit-def: $vgpr18_vgpr19
	s_cbranch_vccz .LBB9_51
; %bb.5:                                ;   in Loop: Header=BB9_4 Depth=1
	v_mov_b64_e32 v[18:19], 0
	s_and_saveexec_b32 s41, s36
	s_cbranch_execz .LBB9_50
; %bb.6:                                ;   in Loop: Header=BB9_4 Depth=1
	s_mul_u64 s[34:35], s[10:11], s[24:25]
	s_mul_u64 s[42:43], s[24:25], s[6:7]
	s_lshl_b64 s[34:35], s[34:35], 3
	s_lshl_b64 s[42:43], s[42:43], 3
	v_add_nc_u64_e32 v[20:21], s[30:31], v[12:13]
	s_add_nc_u64 s[44:45], s[18:19], s[34:35]
	s_add_nc_u64 s[34:35], s[12:13], s[42:43]
	v_mov_b64_e32 v[18:19], 0
	v_mov_b64_e32 v[26:27], v[6:7]
	v_lshl_add_u64 v[22:23], v[2:3], 3, s[44:45]
	v_lshl_add_u64 v[24:25], v[0:1], 3, s[34:35]
	s_mov_b32 s42, 0
	s_branch .LBB9_12
.LBB9_7:                                ;   in Loop: Header=BB9_12 Depth=2
	s_delay_alu instid0(VALU_DEP_1)
	v_mov_b64_e32 v[18:19], v[28:29]
.LBB9_8:                                ;   in Loop: Header=BB9_12 Depth=2
	s_wait_xcnt 0x0
	s_or_b32 exec_lo, exec_lo, s44
.LBB9_9:                                ;   in Loop: Header=BB9_12 Depth=2
	s_delay_alu instid0(SALU_CYCLE_1) | instskip(NEXT) | instid1(VALU_DEP_1)
	s_or_b32 exec_lo, exec_lo, s2
	v_mov_b64_e32 v[28:29], v[18:19]
.LBB9_10:                               ;   in Loop: Header=BB9_12 Depth=2
	s_delay_alu instid0(VALU_DEP_1)
	v_mov_b64_e32 v[18:19], v[28:29]
.LBB9_11:                               ;   in Loop: Header=BB9_12 Depth=2
	s_or_b32 exec_lo, exec_lo, s43
	v_add_nc_u64_e32 v[26:27], 16, v[26:27]
	v_add_nc_u64_e32 v[20:21], 0x80, v[20:21]
	s_delay_alu instid0(VALU_DEP_2) | instskip(SKIP_1) | instid1(VALU_DEP_2)
	v_mov_b32_e32 v4, v26
	v_cmp_lt_i32_e64 s2, s22, v26
	v_cmp_le_u64_e32 vcc_lo, s[8:9], v[4:5]
	s_or_b32 s2, s2, vcc_lo
	s_delay_alu instid0(SALU_CYCLE_1) | instskip(NEXT) | instid1(SALU_CYCLE_1)
	s_and_b32 s2, exec_lo, s2
	s_or_b32 s42, s2, s42
	s_delay_alu instid0(SALU_CYCLE_1)
	s_and_not1_b32 exec_lo, exec_lo, s42
	s_cbranch_execz .LBB9_49
.LBB9_12:                               ;   Parent Loop BB9_4 Depth=1
                                        ; =>  This Inner Loop Header: Depth=2
	s_and_saveexec_b32 s43, s1
	s_cbranch_execz .LBB9_11
; %bb.13:                               ;   in Loop: Header=BB9_12 Depth=2
	s_and_b32 vcc_lo, exec_lo, s23
	s_mov_b32 s2, -1
                                        ; implicit-def: $vgpr28_vgpr29
	s_cbranch_vccz .LBB9_32
; %bb.14:                               ;   in Loop: Header=BB9_12 Depth=2
	v_cmp_eq_u64_e32 vcc_lo, 0, v[26:27]
	v_cmp_lt_i32_e64 s2, v30, v26
                                        ; implicit-def: $vgpr28_vgpr29
	s_or_b32 s2, vcc_lo, s2
	s_delay_alu instid0(SALU_CYCLE_1) | instskip(NEXT) | instid1(SALU_CYCLE_1)
	s_and_saveexec_b32 s44, s2
	s_xor_b32 s2, exec_lo, s44
	s_cbranch_execz .LBB9_25
; %bb.15:                               ;   in Loop: Header=BB9_12 Depth=2
	v_mov_b64_e32 v[28:29], v[18:19]
	s_mov_b32 s44, exec_lo
	v_cmpx_eq_u64_e32 0, v[26:27]
	s_cbranch_execz .LBB9_24
; %bb.16:                               ;   in Loop: Header=BB9_12 Depth=2
	s_and_b32 vcc_lo, exec_lo, s37
	s_mov_b32 s45, -1
                                        ; implicit-def: $vgpr28_vgpr29
	s_cbranch_vccz .LBB9_22
; %bb.17:                               ;   in Loop: Header=BB9_12 Depth=2
	s_and_b32 vcc_lo, exec_lo, s33
                                        ; implicit-def: $vgpr28
                                        ; implicit-def: $vgpr4
	s_cbranch_vccz .LBB9_19
; %bb.18:                               ;   in Loop: Header=BB9_12 Depth=2
	global_load_b64 v[28:29], v[22:23], off
	s_mov_b32 s45, 0
	s_wait_loadcnt 0x0
	v_mov_b32_e32 v4, v29
.LBB9_19:                               ;   in Loop: Header=BB9_12 Depth=2
	s_and_not1_b32 vcc_lo, exec_lo, s45
	s_cbranch_vccnz .LBB9_21
; %bb.20:                               ;   in Loop: Header=BB9_12 Depth=2
	global_load_b64 v[28:29], v[22:23], off
	s_wait_loadcnt 0x0
	v_xor_b32_e32 v4, 0x80000000, v29
.LBB9_21:                               ;   in Loop: Header=BB9_12 Depth=2
	global_load_b64 v[34:35], v[24:25], off
	s_mov_b32 s45, 0
	s_wait_loadcnt 0x0
	v_pk_mul_f32 v[36:37], v[4:5], v[34:35] op_sel:[0,1] op_sel_hi:[0,0]
	s_delay_alu instid0(VALU_DEP_1) | instskip(SKIP_1) | instid1(VALU_DEP_2)
	v_pk_fma_f32 v[38:39], v[34:35], v[28:29], v[36:37] op_sel_hi:[1,0,1]
	v_pk_fma_f32 v[28:29], v[34:35], v[28:29], v[36:37] neg_lo:[0,0,1] neg_hi:[0,0,1]
	v_mov_b32_e32 v29, v39
	s_delay_alu instid0(VALU_DEP_1)
	v_pk_add_f32 v[28:29], v[18:19], v[28:29]
.LBB9_22:                               ;   in Loop: Header=BB9_12 Depth=2
	s_and_b32 vcc_lo, exec_lo, s45
	s_cbranch_vccz .LBB9_24
; %bb.23:                               ;   in Loop: Header=BB9_12 Depth=2
	global_load_b64 v[28:29], v[24:25], off
	s_wait_loadcnt 0x0
	v_pk_add_f32 v[28:29], v[18:19], v[28:29]
.LBB9_24:                               ;   in Loop: Header=BB9_12 Depth=2
	s_wait_xcnt 0x0
	s_or_b32 exec_lo, exec_lo, s44
.LBB9_25:                               ;   in Loop: Header=BB9_12 Depth=2
	s_and_not1_saveexec_b32 s2, s2
	s_cbranch_execz .LBB9_31
; %bb.26:                               ;   in Loop: Header=BB9_12 Depth=2
	s_and_b32 vcc_lo, exec_lo, s33
	s_mov_b32 s44, -1
                                        ; implicit-def: $vgpr28
                                        ; implicit-def: $vgpr4
	s_cbranch_vccz .LBB9_28
; %bb.27:                               ;   in Loop: Header=BB9_12 Depth=2
	global_load_b64 v[28:29], v[20:21], off offset:-4
	s_mov_b32 s44, 0
	s_wait_loadcnt 0x0
	v_mov_b32_e32 v4, v29
.LBB9_28:                               ;   in Loop: Header=BB9_12 Depth=2
	s_and_not1_b32 vcc_lo, exec_lo, s44
	s_cbranch_vccnz .LBB9_30
; %bb.29:                               ;   in Loop: Header=BB9_12 Depth=2
	global_load_b64 v[28:29], v[20:21], off offset:-4
	s_wait_loadcnt 0x0
	v_xor_b32_e32 v4, 0x80000000, v29
.LBB9_30:                               ;   in Loop: Header=BB9_12 Depth=2
	v_add_nc_u32_e32 v29, v0, v26
	global_load_b64 v[34:35], v29, s[34:35] scale_offset
	s_wait_loadcnt 0x0
	v_pk_mul_f32 v[36:37], v[4:5], v[34:35] op_sel:[0,1] op_sel_hi:[0,0]
	s_delay_alu instid0(VALU_DEP_1) | instskip(SKIP_2) | instid1(VALU_DEP_2)
	v_pk_fma_f32 v[38:39], v[34:35], v[28:29], v[36:37] op_sel_hi:[1,0,1]
	s_wait_xcnt 0x0
	v_pk_fma_f32 v[28:29], v[34:35], v[28:29], v[36:37] neg_lo:[0,0,1] neg_hi:[0,0,1]
	v_mov_b32_e32 v29, v39
	s_delay_alu instid0(VALU_DEP_1)
	v_pk_add_f32 v[28:29], v[18:19], v[28:29]
.LBB9_31:                               ;   in Loop: Header=BB9_12 Depth=2
	s_or_b32 exec_lo, exec_lo, s2
	s_mov_b32 s2, 0
.LBB9_32:                               ;   in Loop: Header=BB9_12 Depth=2
	s_delay_alu instid0(SALU_CYCLE_1)
	s_and_not1_b32 vcc_lo, exec_lo, s2
	s_cbranch_vccnz .LBB9_10
; %bb.33:                               ;   in Loop: Header=BB9_12 Depth=2
	v_cmp_gt_i32_e32 vcc_lo, s22, v26
	v_cmp_le_i32_e64 s2, v31, v26
	s_and_b32 s2, vcc_lo, s2
	s_delay_alu instid0(SALU_CYCLE_1) | instskip(NEXT) | instid1(SALU_CYCLE_1)
	s_and_saveexec_b32 s44, s2
	s_xor_b32 s2, exec_lo, s44
	s_cbranch_execz .LBB9_39
; %bb.34:                               ;   in Loop: Header=BB9_12 Depth=2
	s_and_b32 vcc_lo, exec_lo, s33
	s_mov_b32 s44, -1
                                        ; implicit-def: $vgpr4
                                        ; implicit-def: $vgpr28
	s_cbranch_vccz .LBB9_36
; %bb.35:                               ;   in Loop: Header=BB9_12 Depth=2
	global_load_b64 v[28:29], v[20:21], off offset:-4
	s_mov_b32 s44, 0
	s_wait_loadcnt 0x0
	v_mov_b32_e32 v4, v29
.LBB9_36:                               ;   in Loop: Header=BB9_12 Depth=2
	s_and_not1_b32 vcc_lo, exec_lo, s44
	s_cbranch_vccnz .LBB9_38
; %bb.37:                               ;   in Loop: Header=BB9_12 Depth=2
	global_load_b64 v[28:29], v[20:21], off offset:-4
	s_wait_loadcnt 0x0
	v_xor_b32_e32 v4, 0x80000000, v29
.LBB9_38:                               ;   in Loop: Header=BB9_12 Depth=2
	v_add_nc_u32_e32 v29, v8, v26
	global_load_b64 v[34:35], v29, s[34:35] scale_offset
	s_wait_loadcnt 0x0
	v_pk_mul_f32 v[36:37], v[4:5], v[34:35] op_sel:[0,1] op_sel_hi:[0,0]
	s_delay_alu instid0(VALU_DEP_1) | instskip(SKIP_2) | instid1(VALU_DEP_2)
	v_pk_fma_f32 v[38:39], v[34:35], v[28:29], v[36:37] op_sel_hi:[1,0,1]
	s_wait_xcnt 0x0
	v_pk_fma_f32 v[28:29], v[34:35], v[28:29], v[36:37] neg_lo:[0,0,1] neg_hi:[0,0,1]
	v_mov_b32_e32 v29, v39
	s_delay_alu instid0(VALU_DEP_1)
	v_pk_add_f32 v[18:19], v[18:19], v[28:29]
.LBB9_39:                               ;   in Loop: Header=BB9_12 Depth=2
	s_and_not1_saveexec_b32 s2, s2
	s_cbranch_execz .LBB9_9
; %bb.40:                               ;   in Loop: Header=BB9_12 Depth=2
	s_mov_b32 s44, exec_lo
	v_cmpx_eq_u32_e64 s22, v26
	s_cbranch_execz .LBB9_8
; %bb.41:                               ;   in Loop: Header=BB9_12 Depth=2
	s_and_b32 vcc_lo, exec_lo, s37
	s_mov_b32 s45, -1
                                        ; implicit-def: $vgpr28_vgpr29
	s_cbranch_vccz .LBB9_47
; %bb.42:                               ;   in Loop: Header=BB9_12 Depth=2
	s_and_b32 vcc_lo, exec_lo, s33
                                        ; implicit-def: $vgpr28
                                        ; implicit-def: $vgpr4
	s_cbranch_vccz .LBB9_44
; %bb.43:                               ;   in Loop: Header=BB9_12 Depth=2
	global_load_b64 v[28:29], v[20:21], off offset:-4
	s_mov_b32 s45, 0
	s_wait_loadcnt 0x0
	v_mov_b32_e32 v4, v29
.LBB9_44:                               ;   in Loop: Header=BB9_12 Depth=2
	s_and_not1_b32 vcc_lo, exec_lo, s45
	s_cbranch_vccnz .LBB9_46
; %bb.45:                               ;   in Loop: Header=BB9_12 Depth=2
	global_load_b64 v[28:29], v[20:21], off offset:-4
	s_wait_loadcnt 0x0
	v_xor_b32_e32 v4, 0x80000000, v29
.LBB9_46:                               ;   in Loop: Header=BB9_12 Depth=2
	global_load_b64 v[34:35], v[24:25], off
	s_mov_b32 s45, 0
	s_wait_loadcnt 0x0
	v_pk_mul_f32 v[36:37], v[4:5], v[34:35] op_sel:[0,1] op_sel_hi:[0,0]
	s_delay_alu instid0(VALU_DEP_1) | instskip(SKIP_1) | instid1(VALU_DEP_2)
	v_pk_fma_f32 v[38:39], v[34:35], v[28:29], v[36:37] op_sel_hi:[1,0,1]
	v_pk_fma_f32 v[28:29], v[34:35], v[28:29], v[36:37] neg_lo:[0,0,1] neg_hi:[0,0,1]
	v_mov_b32_e32 v29, v39
	s_delay_alu instid0(VALU_DEP_1)
	v_pk_add_f32 v[28:29], v[18:19], v[28:29]
.LBB9_47:                               ;   in Loop: Header=BB9_12 Depth=2
	s_and_b32 vcc_lo, exec_lo, s45
	s_cbranch_vccz .LBB9_7
; %bb.48:                               ;   in Loop: Header=BB9_12 Depth=2
	global_load_b64 v[28:29], v[24:25], off
	s_wait_loadcnt 0x0
	v_pk_add_f32 v[28:29], v[18:19], v[28:29]
	s_branch .LBB9_7
.LBB9_49:                               ;   in Loop: Header=BB9_4 Depth=1
	s_or_b32 exec_lo, exec_lo, s42
.LBB9_50:                               ;   in Loop: Header=BB9_4 Depth=1
	s_delay_alu instid0(SALU_CYCLE_1)
	s_or_b32 exec_lo, exec_lo, s41
	s_mov_b32 s2, 0
.LBB9_51:                               ;   in Loop: Header=BB9_4 Depth=1
	s_delay_alu instid0(SALU_CYCLE_1)
	s_and_not1_b32 vcc_lo, exec_lo, s2
	s_cbranch_vccnz .LBB9_77
; %bb.52:                               ;   in Loop: Header=BB9_4 Depth=1
	v_mov_b64_e32 v[18:19], 0
	s_and_saveexec_b32 s34, s0
	s_cbranch_execz .LBB9_76
; %bb.53:                               ;   in Loop: Header=BB9_4 Depth=1
	v_mad_nc_u64_u32 v[20:21], s14, s24, v[14:15]
	v_add_nc_u64_e32 v[22:23], s[30:31], v[16:17]
	v_mov_b64_e32 v[18:19], 0
	v_dual_mov_b32 v4, v32 :: v_dual_mov_b32 v26, v6
	s_mov_b32 s30, 0
	s_delay_alu instid0(VALU_DEP_4)
	v_mad_u32 v21, s15, s24, v21
	s_branch .LBB9_56
.LBB9_54:                               ;   in Loop: Header=BB9_56 Depth=2
	s_wait_xcnt 0x0
	s_or_b32 exec_lo, exec_lo, s2
.LBB9_55:                               ;   in Loop: Header=BB9_56 Depth=2
	s_delay_alu instid0(SALU_CYCLE_1) | instskip(SKIP_1) | instid1(VALU_DEP_2)
	s_or_b32 exec_lo, exec_lo, s31
	v_dual_add_nc_u32 v26, 16, v26 :: v_dual_add_nc_u32 v4, -16, v4
	v_add_nc_u64_e32 v[20:21], 0x80, v[20:21]
	v_add_nc_u64_e32 v[22:23], s[26:27], v[22:23]
	s_delay_alu instid0(VALU_DEP_3) | instskip(SKIP_1) | instid1(SALU_CYCLE_1)
	v_cmp_le_i32_e32 vcc_lo, s21, v26
	s_or_b32 s30, vcc_lo, s30
	s_and_not1_b32 exec_lo, exec_lo, s30
	s_cbranch_execz .LBB9_75
.LBB9_56:                               ;   Parent Loop BB9_4 Depth=1
                                        ; =>  This Inner Loop Header: Depth=2
	s_and_saveexec_b32 s31, s1
	s_cbranch_execz .LBB9_55
; %bb.57:                               ;   in Loop: Header=BB9_56 Depth=2
	v_cmp_le_i32_e32 vcc_lo, s22, v4
	v_cmp_gt_i32_e64 s2, 1, v4
	s_or_b32 s2, vcc_lo, s2
	s_delay_alu instid0(SALU_CYCLE_1) | instskip(NEXT) | instid1(SALU_CYCLE_1)
	s_and_saveexec_b32 s35, s2
	s_xor_b32 s2, exec_lo, s35
	s_cbranch_execz .LBB9_73
; %bb.58:                               ;   in Loop: Header=BB9_56 Depth=2
	s_mov_b32 s35, exec_lo
	v_cmpx_ne_u32_e32 0, v4
	s_xor_b32 s35, exec_lo, s35
	s_cbranch_execz .LBB9_66
; %bb.59:                               ;   in Loop: Header=BB9_56 Depth=2
	s_mov_b32 s41, exec_lo
	v_cmpx_eq_u32_e64 s22, v4
	s_cbranch_execz .LBB9_65
; %bb.60:                               ;   in Loop: Header=BB9_56 Depth=2
	s_and_b32 vcc_lo, exec_lo, s38
	s_mov_b32 s42, -1
                                        ; implicit-def: $vgpr24_vgpr25
	s_cbranch_vccz .LBB9_62
; %bb.61:                               ;   in Loop: Header=BB9_56 Depth=2
	v_add_nc_u64_e32 v[24:25], s[28:29], v[22:23]
	s_mov_b32 s42, 0
	global_load_b64 v[28:29], v[24:25], off
	global_load_b64 v[34:35], v[20:21], off
	s_wait_loadcnt 0x0
	s_wait_xcnt 0x1
	v_pk_mul_f32 v[24:25], v[34:35], v[28:29] op_sel:[1,1] op_sel_hi:[0,1]
	s_delay_alu instid0(VALU_DEP_1) | instskip(SKIP_1) | instid1(VALU_DEP_2)
	v_pk_fma_f32 v[36:37], v[34:35], v[28:29], v[24:25] op_sel_hi:[1,0,1]
	v_pk_fma_f32 v[24:25], v[34:35], v[28:29], v[24:25] neg_lo:[0,0,1] neg_hi:[0,0,1]
	v_mov_b32_e32 v25, v37
	s_delay_alu instid0(VALU_DEP_1)
	v_pk_add_f32 v[24:25], v[18:19], v[24:25]
.LBB9_62:                               ;   in Loop: Header=BB9_56 Depth=2
	s_and_not1_b32 vcc_lo, exec_lo, s42
	s_cbranch_vccnz .LBB9_64
; %bb.63:                               ;   in Loop: Header=BB9_56 Depth=2
	global_load_b64 v[24:25], v[20:21], off
	s_wait_loadcnt 0x0
	v_pk_add_f32 v[24:25], v[18:19], v[24:25]
.LBB9_64:                               ;   in Loop: Header=BB9_56 Depth=2
	s_delay_alu instid0(VALU_DEP_1)
	v_mov_b64_e32 v[18:19], v[24:25]
.LBB9_65:                               ;   in Loop: Header=BB9_56 Depth=2
	s_wait_xcnt 0x0
	s_or_b32 exec_lo, exec_lo, s41
.LBB9_66:                               ;   in Loop: Header=BB9_56 Depth=2
	s_and_not1_saveexec_b32 s35, s35
	s_cbranch_execz .LBB9_72
; %bb.67:                               ;   in Loop: Header=BB9_56 Depth=2
	s_and_not1_b32 vcc_lo, exec_lo, s40
	s_mov_b32 s41, -1
                                        ; implicit-def: $vgpr24_vgpr25
	s_cbranch_vccnz .LBB9_69
; %bb.68:                               ;   in Loop: Header=BB9_56 Depth=2
	global_load_b64 v[24:25], v[20:21], off
	s_mov_b32 s41, 0
	s_wait_loadcnt 0x0
	v_pk_add_f32 v[24:25], v[18:19], v[24:25]
.LBB9_69:                               ;   in Loop: Header=BB9_56 Depth=2
	s_and_not1_b32 vcc_lo, exec_lo, s41
	s_cbranch_vccnz .LBB9_71
; %bb.70:                               ;   in Loop: Header=BB9_56 Depth=2
	global_load_b64 v[24:25], v[22:23], off
	global_load_b64 v[28:29], v[20:21], off
	s_wait_loadcnt 0x0
	v_pk_mul_f32 v[34:35], v[28:29], v[24:25] op_sel:[1,1] op_sel_hi:[0,1]
	s_delay_alu instid0(VALU_DEP_1) | instskip(SKIP_1) | instid1(VALU_DEP_2)
	v_pk_fma_f32 v[36:37], v[28:29], v[24:25], v[34:35] op_sel_hi:[1,0,1]
	v_pk_fma_f32 v[24:25], v[28:29], v[24:25], v[34:35] neg_lo:[0,0,1] neg_hi:[0,0,1]
	v_mov_b32_e32 v25, v37
	s_delay_alu instid0(VALU_DEP_1)
	v_pk_add_f32 v[24:25], v[18:19], v[24:25]
.LBB9_71:                               ;   in Loop: Header=BB9_56 Depth=2
	s_delay_alu instid0(VALU_DEP_1)
	v_mov_b64_e32 v[18:19], v[24:25]
.LBB9_72:                               ;   in Loop: Header=BB9_56 Depth=2
	s_wait_xcnt 0x0
	s_or_b32 exec_lo, exec_lo, s35
.LBB9_73:                               ;   in Loop: Header=BB9_56 Depth=2
	s_and_not1_saveexec_b32 s2, s2
	s_cbranch_execz .LBB9_54
; %bb.74:                               ;   in Loop: Header=BB9_56 Depth=2
	v_lshl_add_u64 v[24:25], v[4:5], 3, v[22:23]
	global_load_b64 v[28:29], v[24:25], off
	global_load_b64 v[34:35], v[20:21], off
	s_wait_loadcnt 0x0
	s_wait_xcnt 0x1
	v_pk_mul_f32 v[24:25], v[34:35], v[28:29] op_sel:[1,1] op_sel_hi:[0,1]
	s_delay_alu instid0(VALU_DEP_1) | instskip(SKIP_1) | instid1(VALU_DEP_2)
	v_pk_fma_f32 v[36:37], v[34:35], v[28:29], v[24:25] op_sel_hi:[1,0,1]
	v_pk_fma_f32 v[24:25], v[34:35], v[28:29], v[24:25] neg_lo:[0,0,1] neg_hi:[0,0,1]
	v_mov_b32_e32 v25, v37
	s_delay_alu instid0(VALU_DEP_1)
	v_pk_add_f32 v[18:19], v[18:19], v[24:25]
	s_branch .LBB9_54
.LBB9_75:                               ;   in Loop: Header=BB9_4 Depth=1
	s_or_b32 exec_lo, exec_lo, s30
.LBB9_76:                               ;   in Loop: Header=BB9_4 Depth=1
	s_delay_alu instid0(SALU_CYCLE_1)
	s_or_b32 exec_lo, exec_lo, s34
.LBB9_77:                               ;   in Loop: Header=BB9_4 Depth=1
	ds_store_b64 v9, v[18:19]
	s_wait_dscnt 0x0
	s_barrier_signal -1
	s_barrier_wait -1
	s_and_saveexec_b32 s2, s39
	s_cbranch_execz .LBB9_3
; %bb.78:                               ;   in Loop: Header=BB9_4 Depth=1
	ds_load_2addr_stride64_b64 v[18:21], v9 offset1:1
	ds_load_2addr_stride64_b64 v[22:25], v9 offset0:2 offset1:3
	ds_load_2addr_stride64_b64 v[26:29], v9 offset0:4 offset1:5
	s_wait_kmcnt 0x0
	s_mul_u64 s[30:31], s[16:17], s[24:25]
	s_wait_dscnt 0x2
	v_pk_add_f32 v[34:35], v[18:19], v[20:21]
	ds_load_2addr_stride64_b64 v[18:21], v9 offset0:6 offset1:7
	s_wait_dscnt 0x2
	v_pk_add_f32 v[22:23], v[34:35], v[22:23]
	s_delay_alu instid0(VALU_DEP_1) | instskip(SKIP_3) | instid1(VALU_DEP_1)
	v_pk_add_f32 v[34:35], v[22:23], v[24:25]
	ds_load_2addr_stride64_b64 v[22:25], v9 offset0:8 offset1:9
	s_wait_dscnt 0x2
	v_pk_add_f32 v[26:27], v[34:35], v[26:27]
	v_pk_add_f32 v[34:35], v[26:27], v[28:29]
	ds_load_2addr_stride64_b64 v[26:29], v9 offset0:10 offset1:11
	s_wait_dscnt 0x2
	v_pk_add_f32 v[18:19], v[34:35], v[18:19]
	s_delay_alu instid0(VALU_DEP_1) | instskip(SKIP_3) | instid1(VALU_DEP_1)
	v_pk_add_f32 v[34:35], v[18:19], v[20:21]
	ds_load_2addr_stride64_b64 v[18:21], v9 offset0:12 offset1:13
	s_wait_dscnt 0x2
	v_pk_add_f32 v[22:23], v[34:35], v[22:23]
	v_pk_add_f32 v[34:35], v[22:23], v[24:25]
	ds_load_2addr_stride64_b64 v[22:25], v9 offset0:14 offset1:15
	s_wait_dscnt 0x2
	v_pk_add_f32 v[26:27], v[34:35], v[26:27]
	s_delay_alu instid0(VALU_DEP_1) | instskip(SKIP_1) | instid1(VALU_DEP_1)
	v_pk_add_f32 v[26:27], v[26:27], v[28:29]
	s_wait_dscnt 0x1
	v_pk_add_f32 v[18:19], v[26:27], v[18:19]
	s_delay_alu instid0(VALU_DEP_1) | instskip(SKIP_2) | instid1(VALU_DEP_2)
	v_pk_add_f32 v[18:19], v[18:19], v[20:21]
	v_lshl_add_u64 v[20:21], s[30:31], 3, v[10:11]
	s_wait_dscnt 0x0
	v_pk_add_f32 v[18:19], v[18:19], v[22:23]
	s_delay_alu instid0(VALU_DEP_1)
	v_pk_add_f32 v[18:19], v[18:19], v[24:25]
	ds_store_b64 v9, v[18:19]
	global_store_b64 v[20:21], v[18:19], off
	s_branch .LBB9_3
.LBB9_79:
	s_endpgm
	.section	.rodata,"a",@progbits
	.p2align	6, 0x0
	.amdhsa_kernel _ZL20rocblas_tbmvx_kernelILi64ELi16EPK19rocblas_complex_numIfEPS1_Ev18rocblas_operation_bbiiT1_lllS6_T2_llli
		.amdhsa_group_segment_fixed_size 8192
		.amdhsa_private_segment_fixed_size 0
		.amdhsa_kernarg_size 352
		.amdhsa_user_sgpr_count 2
		.amdhsa_user_sgpr_dispatch_ptr 0
		.amdhsa_user_sgpr_queue_ptr 0
		.amdhsa_user_sgpr_kernarg_segment_ptr 1
		.amdhsa_user_sgpr_dispatch_id 0
		.amdhsa_user_sgpr_kernarg_preload_length 0
		.amdhsa_user_sgpr_kernarg_preload_offset 0
		.amdhsa_user_sgpr_private_segment_size 0
		.amdhsa_wavefront_size32 1
		.amdhsa_uses_dynamic_stack 0
		.amdhsa_enable_private_segment 0
		.amdhsa_system_sgpr_workgroup_id_x 1
		.amdhsa_system_sgpr_workgroup_id_y 0
		.amdhsa_system_sgpr_workgroup_id_z 1
		.amdhsa_system_sgpr_workgroup_info 0
		.amdhsa_system_vgpr_workitem_id 1
		.amdhsa_next_free_vgpr 40
		.amdhsa_next_free_sgpr 46
		.amdhsa_named_barrier_count 0
		.amdhsa_reserve_vcc 1
		.amdhsa_float_round_mode_32 0
		.amdhsa_float_round_mode_16_64 0
		.amdhsa_float_denorm_mode_32 3
		.amdhsa_float_denorm_mode_16_64 3
		.amdhsa_fp16_overflow 0
		.amdhsa_memory_ordered 1
		.amdhsa_forward_progress 1
		.amdhsa_inst_pref_size 20
		.amdhsa_round_robin_scheduling 0
		.amdhsa_exception_fp_ieee_invalid_op 0
		.amdhsa_exception_fp_denorm_src 0
		.amdhsa_exception_fp_ieee_div_zero 0
		.amdhsa_exception_fp_ieee_overflow 0
		.amdhsa_exception_fp_ieee_underflow 0
		.amdhsa_exception_fp_ieee_inexact 0
		.amdhsa_exception_int_div_zero 0
	.end_amdhsa_kernel
	.section	.text._ZL20rocblas_tbmvx_kernelILi64ELi16EPK19rocblas_complex_numIfEPS1_Ev18rocblas_operation_bbiiT1_lllS6_T2_llli,"axG",@progbits,_ZL20rocblas_tbmvx_kernelILi64ELi16EPK19rocblas_complex_numIfEPS1_Ev18rocblas_operation_bbiiT1_lllS6_T2_llli,comdat
.Lfunc_end9:
	.size	_ZL20rocblas_tbmvx_kernelILi64ELi16EPK19rocblas_complex_numIfEPS1_Ev18rocblas_operation_bbiiT1_lllS6_T2_llli, .Lfunc_end9-_ZL20rocblas_tbmvx_kernelILi64ELi16EPK19rocblas_complex_numIfEPS1_Ev18rocblas_operation_bbiiT1_lllS6_T2_llli
                                        ; -- End function
	.set _ZL20rocblas_tbmvx_kernelILi64ELi16EPK19rocblas_complex_numIfEPS1_Ev18rocblas_operation_bbiiT1_lllS6_T2_llli.num_vgpr, 40
	.set _ZL20rocblas_tbmvx_kernelILi64ELi16EPK19rocblas_complex_numIfEPS1_Ev18rocblas_operation_bbiiT1_lllS6_T2_llli.num_agpr, 0
	.set _ZL20rocblas_tbmvx_kernelILi64ELi16EPK19rocblas_complex_numIfEPS1_Ev18rocblas_operation_bbiiT1_lllS6_T2_llli.numbered_sgpr, 46
	.set _ZL20rocblas_tbmvx_kernelILi64ELi16EPK19rocblas_complex_numIfEPS1_Ev18rocblas_operation_bbiiT1_lllS6_T2_llli.num_named_barrier, 0
	.set _ZL20rocblas_tbmvx_kernelILi64ELi16EPK19rocblas_complex_numIfEPS1_Ev18rocblas_operation_bbiiT1_lllS6_T2_llli.private_seg_size, 0
	.set _ZL20rocblas_tbmvx_kernelILi64ELi16EPK19rocblas_complex_numIfEPS1_Ev18rocblas_operation_bbiiT1_lllS6_T2_llli.uses_vcc, 1
	.set _ZL20rocblas_tbmvx_kernelILi64ELi16EPK19rocblas_complex_numIfEPS1_Ev18rocblas_operation_bbiiT1_lllS6_T2_llli.uses_flat_scratch, 0
	.set _ZL20rocblas_tbmvx_kernelILi64ELi16EPK19rocblas_complex_numIfEPS1_Ev18rocblas_operation_bbiiT1_lllS6_T2_llli.has_dyn_sized_stack, 0
	.set _ZL20rocblas_tbmvx_kernelILi64ELi16EPK19rocblas_complex_numIfEPS1_Ev18rocblas_operation_bbiiT1_lllS6_T2_llli.has_recursion, 0
	.set _ZL20rocblas_tbmvx_kernelILi64ELi16EPK19rocblas_complex_numIfEPS1_Ev18rocblas_operation_bbiiT1_lllS6_T2_llli.has_indirect_call, 0
	.section	.AMDGPU.csdata,"",@progbits
; Kernel info:
; codeLenInByte = 2492
; TotalNumSgprs: 48
; NumVgprs: 40
; ScratchSize: 0
; MemoryBound: 1
; FloatMode: 240
; IeeeMode: 1
; LDSByteSize: 8192 bytes/workgroup (compile time only)
; SGPRBlocks: 0
; VGPRBlocks: 2
; NumSGPRsForWavesPerEU: 48
; NumVGPRsForWavesPerEU: 40
; NamedBarCnt: 0
; Occupancy: 16
; WaveLimiterHint : 1
; COMPUTE_PGM_RSRC2:SCRATCH_EN: 0
; COMPUTE_PGM_RSRC2:USER_SGPR: 2
; COMPUTE_PGM_RSRC2:TRAP_HANDLER: 0
; COMPUTE_PGM_RSRC2:TGID_X_EN: 1
; COMPUTE_PGM_RSRC2:TGID_Y_EN: 0
; COMPUTE_PGM_RSRC2:TGID_Z_EN: 1
; COMPUTE_PGM_RSRC2:TIDIG_COMP_CNT: 1
	.section	.text._ZL19rocblas_copy_kernelIlLi256EP19rocblas_complex_numIdES2_EviT1_lT_lT2_lS4_li,"axG",@progbits,_ZL19rocblas_copy_kernelIlLi256EP19rocblas_complex_numIdES2_EviT1_lT_lT2_lS4_li,comdat
	.globl	_ZL19rocblas_copy_kernelIlLi256EP19rocblas_complex_numIdES2_EviT1_lT_lT2_lS4_li ; -- Begin function _ZL19rocblas_copy_kernelIlLi256EP19rocblas_complex_numIdES2_EviT1_lT_lT2_lS4_li
	.p2align	8
	.type	_ZL19rocblas_copy_kernelIlLi256EP19rocblas_complex_numIdES2_EviT1_lT_lT2_lS4_li,@function
_ZL19rocblas_copy_kernelIlLi256EP19rocblas_complex_numIdES2_EviT1_lT_lT2_lS4_li: ; @_ZL19rocblas_copy_kernelIlLi256EP19rocblas_complex_numIdES2_EviT1_lT_lT2_lS4_li
; %bb.0:
	s_load_b32 s20, s[0:1], 0x48
	s_bfe_u32 s2, ttmp6, 0x40014
	s_lshr_b32 s3, ttmp7, 16
	s_add_co_i32 s2, s2, 1
	s_bfe_u32 s4, ttmp6, 0x40008
	s_mul_i32 s2, s3, s2
	s_getreg_b32 s21, hwreg(HW_REG_IB_STS2, 6, 4)
	s_add_co_i32 s4, s4, s2
	s_cmp_eq_u32 s21, 0
	s_cselect_b32 s2, s3, s4
	s_mov_b32 s3, 0
	s_wait_kmcnt 0x0
	s_cmp_ge_u32 s2, s20
	s_cbranch_scc1 .LBB10_5
; %bb.1:
	s_clause 0x1
	s_load_b32 s22, s[0:1], 0x0
	s_load_b512 s[4:19], s[0:1], 0x8
	s_wait_xcnt 0x0
	s_bfe_u32 s0, ttmp6, 0x4000c
	s_and_b32 s1, ttmp6, 15
	s_add_co_i32 s0, s0, 1
	v_mov_b32_e32 v1, 0
	s_mul_i32 s0, ttmp9, s0
	s_delay_alu instid0(SALU_CYCLE_1)
	s_add_co_i32 s24, s1, s0
	s_wait_kmcnt 0x0
	s_ashr_i32 s23, s22, 31
	s_lshl_b64 s[0:1], s[6:7], 4
	s_lshl_b64 s[6:7], s[14:15], 4
	s_cmp_eq_u32 s21, 0
	s_add_nc_u64 s[0:1], s[4:5], s[0:1]
	s_cselect_b32 s14, ttmp9, s24
	s_add_nc_u64 s[4:5], s[12:13], s[6:7]
	v_lshl_or_b32 v0, s14, 8, v0
	s_delay_alu instid0(VALU_DEP_1) | instskip(SKIP_2) | instid1(VALU_DEP_3)
	v_mul_u64_e32 v[2:3], s[8:9], v[0:1]
	v_mul_u64_e32 v[4:5], s[16:17], v[0:1]
	v_cmp_gt_i64_e32 vcc_lo, s[22:23], v[0:1]
	v_lshl_add_u64 v[0:1], v[2:3], 4, s[0:1]
	s_delay_alu instid0(VALU_DEP_3)
	v_lshl_add_u64 v[2:3], v[4:5], 4, s[4:5]
	s_branch .LBB10_3
.LBB10_2:                               ;   in Loop: Header=BB10_3 Depth=1
	s_wait_xcnt 0x0
	s_or_b32 exec_lo, exec_lo, s0
	s_add_co_i32 s2, s2, 0x10000
	s_delay_alu instid0(SALU_CYCLE_1)
	s_cmp_lt_u32 s2, s20
	s_cbranch_scc0 .LBB10_5
.LBB10_3:                               ; =>This Inner Loop Header: Depth=1
	s_and_saveexec_b32 s0, vcc_lo
	s_cbranch_execz .LBB10_2
; %bb.4:                                ;   in Loop: Header=BB10_3 Depth=1
	s_mul_u64 s[4:5], s[10:11], s[2:3]
	s_delay_alu instid0(SALU_CYCLE_1) | instskip(SKIP_1) | instid1(SALU_CYCLE_1)
	v_lshl_add_u64 v[4:5], s[4:5], 4, v[0:1]
	s_mul_u64 s[4:5], s[18:19], s[2:3]
	v_lshl_add_u64 v[8:9], s[4:5], 4, v[2:3]
	global_load_b128 v[4:7], v[4:5], off
	s_wait_loadcnt 0x0
	global_store_b128 v[8:9], v[4:7], off
	s_branch .LBB10_2
.LBB10_5:
	s_endpgm
	.section	.rodata,"a",@progbits
	.p2align	6, 0x0
	.amdhsa_kernel _ZL19rocblas_copy_kernelIlLi256EP19rocblas_complex_numIdES2_EviT1_lT_lT2_lS4_li
		.amdhsa_group_segment_fixed_size 0
		.amdhsa_private_segment_fixed_size 0
		.amdhsa_kernarg_size 76
		.amdhsa_user_sgpr_count 2
		.amdhsa_user_sgpr_dispatch_ptr 0
		.amdhsa_user_sgpr_queue_ptr 0
		.amdhsa_user_sgpr_kernarg_segment_ptr 1
		.amdhsa_user_sgpr_dispatch_id 0
		.amdhsa_user_sgpr_kernarg_preload_length 0
		.amdhsa_user_sgpr_kernarg_preload_offset 0
		.amdhsa_user_sgpr_private_segment_size 0
		.amdhsa_wavefront_size32 1
		.amdhsa_uses_dynamic_stack 0
		.amdhsa_enable_private_segment 0
		.amdhsa_system_sgpr_workgroup_id_x 1
		.amdhsa_system_sgpr_workgroup_id_y 0
		.amdhsa_system_sgpr_workgroup_id_z 1
		.amdhsa_system_sgpr_workgroup_info 0
		.amdhsa_system_vgpr_workitem_id 0
		.amdhsa_next_free_vgpr 10
		.amdhsa_next_free_sgpr 25
		.amdhsa_named_barrier_count 0
		.amdhsa_reserve_vcc 1
		.amdhsa_float_round_mode_32 0
		.amdhsa_float_round_mode_16_64 0
		.amdhsa_float_denorm_mode_32 3
		.amdhsa_float_denorm_mode_16_64 3
		.amdhsa_fp16_overflow 0
		.amdhsa_memory_ordered 1
		.amdhsa_forward_progress 1
		.amdhsa_inst_pref_size 3
		.amdhsa_round_robin_scheduling 0
		.amdhsa_exception_fp_ieee_invalid_op 0
		.amdhsa_exception_fp_denorm_src 0
		.amdhsa_exception_fp_ieee_div_zero 0
		.amdhsa_exception_fp_ieee_overflow 0
		.amdhsa_exception_fp_ieee_underflow 0
		.amdhsa_exception_fp_ieee_inexact 0
		.amdhsa_exception_int_div_zero 0
	.end_amdhsa_kernel
	.section	.text._ZL19rocblas_copy_kernelIlLi256EP19rocblas_complex_numIdES2_EviT1_lT_lT2_lS4_li,"axG",@progbits,_ZL19rocblas_copy_kernelIlLi256EP19rocblas_complex_numIdES2_EviT1_lT_lT2_lS4_li,comdat
.Lfunc_end10:
	.size	_ZL19rocblas_copy_kernelIlLi256EP19rocblas_complex_numIdES2_EviT1_lT_lT2_lS4_li, .Lfunc_end10-_ZL19rocblas_copy_kernelIlLi256EP19rocblas_complex_numIdES2_EviT1_lT_lT2_lS4_li
                                        ; -- End function
	.set _ZL19rocblas_copy_kernelIlLi256EP19rocblas_complex_numIdES2_EviT1_lT_lT2_lS4_li.num_vgpr, 10
	.set _ZL19rocblas_copy_kernelIlLi256EP19rocblas_complex_numIdES2_EviT1_lT_lT2_lS4_li.num_agpr, 0
	.set _ZL19rocblas_copy_kernelIlLi256EP19rocblas_complex_numIdES2_EviT1_lT_lT2_lS4_li.numbered_sgpr, 25
	.set _ZL19rocblas_copy_kernelIlLi256EP19rocblas_complex_numIdES2_EviT1_lT_lT2_lS4_li.num_named_barrier, 0
	.set _ZL19rocblas_copy_kernelIlLi256EP19rocblas_complex_numIdES2_EviT1_lT_lT2_lS4_li.private_seg_size, 0
	.set _ZL19rocblas_copy_kernelIlLi256EP19rocblas_complex_numIdES2_EviT1_lT_lT2_lS4_li.uses_vcc, 1
	.set _ZL19rocblas_copy_kernelIlLi256EP19rocblas_complex_numIdES2_EviT1_lT_lT2_lS4_li.uses_flat_scratch, 0
	.set _ZL19rocblas_copy_kernelIlLi256EP19rocblas_complex_numIdES2_EviT1_lT_lT2_lS4_li.has_dyn_sized_stack, 0
	.set _ZL19rocblas_copy_kernelIlLi256EP19rocblas_complex_numIdES2_EviT1_lT_lT2_lS4_li.has_recursion, 0
	.set _ZL19rocblas_copy_kernelIlLi256EP19rocblas_complex_numIdES2_EviT1_lT_lT2_lS4_li.has_indirect_call, 0
	.section	.AMDGPU.csdata,"",@progbits
; Kernel info:
; codeLenInByte = 304
; TotalNumSgprs: 27
; NumVgprs: 10
; ScratchSize: 0
; MemoryBound: 0
; FloatMode: 240
; IeeeMode: 1
; LDSByteSize: 0 bytes/workgroup (compile time only)
; SGPRBlocks: 0
; VGPRBlocks: 0
; NumSGPRsForWavesPerEU: 27
; NumVGPRsForWavesPerEU: 10
; NamedBarCnt: 0
; Occupancy: 16
; WaveLimiterHint : 0
; COMPUTE_PGM_RSRC2:SCRATCH_EN: 0
; COMPUTE_PGM_RSRC2:USER_SGPR: 2
; COMPUTE_PGM_RSRC2:TRAP_HANDLER: 0
; COMPUTE_PGM_RSRC2:TGID_X_EN: 1
; COMPUTE_PGM_RSRC2:TGID_Y_EN: 0
; COMPUTE_PGM_RSRC2:TGID_Z_EN: 1
; COMPUTE_PGM_RSRC2:TIDIG_COMP_CNT: 0
	.section	.text._ZL19rocblas_copy_kernelIiLi256EP19rocblas_complex_numIdES2_EviT1_lT_lT2_lS4_li,"axG",@progbits,_ZL19rocblas_copy_kernelIiLi256EP19rocblas_complex_numIdES2_EviT1_lT_lT2_lS4_li,comdat
	.globl	_ZL19rocblas_copy_kernelIiLi256EP19rocblas_complex_numIdES2_EviT1_lT_lT2_lS4_li ; -- Begin function _ZL19rocblas_copy_kernelIiLi256EP19rocblas_complex_numIdES2_EviT1_lT_lT2_lS4_li
	.p2align	8
	.type	_ZL19rocblas_copy_kernelIiLi256EP19rocblas_complex_numIdES2_EviT1_lT_lT2_lS4_li,@function
_ZL19rocblas_copy_kernelIiLi256EP19rocblas_complex_numIdES2_EviT1_lT_lT2_lS4_li: ; @_ZL19rocblas_copy_kernelIiLi256EP19rocblas_complex_numIdES2_EviT1_lT_lT2_lS4_li
; %bb.0:
	s_load_b32 s12, s[0:1], 0x48
	s_bfe_u32 s2, ttmp6, 0x40014
	s_lshr_b32 s3, ttmp7, 16
	s_add_co_i32 s2, s2, 1
	s_bfe_u32 s4, ttmp6, 0x40008
	s_mul_i32 s2, s3, s2
	s_getreg_b32 s8, hwreg(HW_REG_IB_STS2, 6, 4)
	s_add_co_i32 s4, s4, s2
	s_cmp_eq_u32 s8, 0
	s_cselect_b32 s2, s3, s4
	s_mov_b32 s3, 0
	s_wait_kmcnt 0x0
	s_cmp_ge_u32 s2, s12
	s_cbranch_scc1 .LBB11_5
; %bb.1:
	s_clause 0x3
	s_load_b32 s14, s[0:1], 0x0
	s_load_b32 s10, s[0:1], 0x18
	s_load_b96 s[16:18], s[0:1], 0x30
	s_load_b128 s[4:7], s[0:1], 0x8
	s_bfe_u32 s9, ttmp6, 0x4000c
	s_and_b32 s11, ttmp6, 15
	s_add_co_i32 s9, s9, 1
	v_mov_b32_e32 v1, 0
	s_mul_i32 s9, ttmp9, s9
	s_delay_alu instid0(SALU_CYCLE_1)
	s_add_co_i32 s13, s11, s9
	s_wait_kmcnt 0x0
	s_ashr_i32 s15, s14, 31
	s_ashr_i32 s11, s10, 31
	;; [unrolled: 1-line block ×3, first 2 shown]
	s_lshl_b64 s[20:21], s[6:7], 4
	s_lshl_b64 s[16:17], s[16:17], 4
	s_cmp_eq_u32 s8, 0
	s_mov_b32 s8, s18
	s_cselect_b32 s6, ttmp9, s13
	s_delay_alu instid0(SALU_CYCLE_1) | instskip(NEXT) | instid1(VALU_DEP_1)
	v_lshl_or_b32 v0, s6, 8, v0
	v_mul_u64_e32 v[2:3], s[10:11], v[0:1]
	v_mul_u64_e32 v[4:5], s[8:9], v[0:1]
	s_clause 0x1
	s_load_b128 s[8:11], s[0:1], 0x20
	s_load_b64 s[6:7], s[0:1], 0x40
	s_wait_xcnt 0x0
	s_add_nc_u64 s[0:1], s[4:5], s[20:21]
	v_cmp_gt_i64_e32 vcc_lo, s[14:15], v[0:1]
	s_wait_kmcnt 0x0
	s_add_nc_u64 s[4:5], s[10:11], s[16:17]
	s_delay_alu instid0(VALU_DEP_3) | instskip(NEXT) | instid1(VALU_DEP_3)
	v_lshl_add_u64 v[0:1], v[2:3], 4, s[0:1]
	v_lshl_add_u64 v[2:3], v[4:5], 4, s[4:5]
	s_branch .LBB11_3
.LBB11_2:                               ;   in Loop: Header=BB11_3 Depth=1
	s_wait_xcnt 0x0
	s_or_b32 exec_lo, exec_lo, s0
	s_add_co_i32 s2, s2, 0x10000
	s_delay_alu instid0(SALU_CYCLE_1)
	s_cmp_lt_u32 s2, s12
	s_cbranch_scc0 .LBB11_5
.LBB11_3:                               ; =>This Inner Loop Header: Depth=1
	s_and_saveexec_b32 s0, vcc_lo
	s_cbranch_execz .LBB11_2
; %bb.4:                                ;   in Loop: Header=BB11_3 Depth=1
	s_mul_u64 s[4:5], s[8:9], s[2:3]
	s_delay_alu instid0(SALU_CYCLE_1) | instskip(SKIP_1) | instid1(SALU_CYCLE_1)
	v_lshl_add_u64 v[4:5], s[4:5], 4, v[0:1]
	s_mul_u64 s[4:5], s[6:7], s[2:3]
	v_lshl_add_u64 v[8:9], s[4:5], 4, v[2:3]
	global_load_b128 v[4:7], v[4:5], off
	s_wait_loadcnt 0x0
	global_store_b128 v[8:9], v[4:7], off
	s_branch .LBB11_2
.LBB11_5:
	s_endpgm
	.section	.rodata,"a",@progbits
	.p2align	6, 0x0
	.amdhsa_kernel _ZL19rocblas_copy_kernelIiLi256EP19rocblas_complex_numIdES2_EviT1_lT_lT2_lS4_li
		.amdhsa_group_segment_fixed_size 0
		.amdhsa_private_segment_fixed_size 0
		.amdhsa_kernarg_size 76
		.amdhsa_user_sgpr_count 2
		.amdhsa_user_sgpr_dispatch_ptr 0
		.amdhsa_user_sgpr_queue_ptr 0
		.amdhsa_user_sgpr_kernarg_segment_ptr 1
		.amdhsa_user_sgpr_dispatch_id 0
		.amdhsa_user_sgpr_kernarg_preload_length 0
		.amdhsa_user_sgpr_kernarg_preload_offset 0
		.amdhsa_user_sgpr_private_segment_size 0
		.amdhsa_wavefront_size32 1
		.amdhsa_uses_dynamic_stack 0
		.amdhsa_enable_private_segment 0
		.amdhsa_system_sgpr_workgroup_id_x 1
		.amdhsa_system_sgpr_workgroup_id_y 0
		.amdhsa_system_sgpr_workgroup_id_z 1
		.amdhsa_system_sgpr_workgroup_info 0
		.amdhsa_system_vgpr_workitem_id 0
		.amdhsa_next_free_vgpr 10
		.amdhsa_next_free_sgpr 22
		.amdhsa_named_barrier_count 0
		.amdhsa_reserve_vcc 1
		.amdhsa_float_round_mode_32 0
		.amdhsa_float_round_mode_16_64 0
		.amdhsa_float_denorm_mode_32 3
		.amdhsa_float_denorm_mode_16_64 3
		.amdhsa_fp16_overflow 0
		.amdhsa_memory_ordered 1
		.amdhsa_forward_progress 1
		.amdhsa_inst_pref_size 3
		.amdhsa_round_robin_scheduling 0
		.amdhsa_exception_fp_ieee_invalid_op 0
		.amdhsa_exception_fp_denorm_src 0
		.amdhsa_exception_fp_ieee_div_zero 0
		.amdhsa_exception_fp_ieee_overflow 0
		.amdhsa_exception_fp_ieee_underflow 0
		.amdhsa_exception_fp_ieee_inexact 0
		.amdhsa_exception_int_div_zero 0
	.end_amdhsa_kernel
	.section	.text._ZL19rocblas_copy_kernelIiLi256EP19rocblas_complex_numIdES2_EviT1_lT_lT2_lS4_li,"axG",@progbits,_ZL19rocblas_copy_kernelIiLi256EP19rocblas_complex_numIdES2_EviT1_lT_lT2_lS4_li,comdat
.Lfunc_end11:
	.size	_ZL19rocblas_copy_kernelIiLi256EP19rocblas_complex_numIdES2_EviT1_lT_lT2_lS4_li, .Lfunc_end11-_ZL19rocblas_copy_kernelIiLi256EP19rocblas_complex_numIdES2_EviT1_lT_lT2_lS4_li
                                        ; -- End function
	.set _ZL19rocblas_copy_kernelIiLi256EP19rocblas_complex_numIdES2_EviT1_lT_lT2_lS4_li.num_vgpr, 10
	.set _ZL19rocblas_copy_kernelIiLi256EP19rocblas_complex_numIdES2_EviT1_lT_lT2_lS4_li.num_agpr, 0
	.set _ZL19rocblas_copy_kernelIiLi256EP19rocblas_complex_numIdES2_EviT1_lT_lT2_lS4_li.numbered_sgpr, 22
	.set _ZL19rocblas_copy_kernelIiLi256EP19rocblas_complex_numIdES2_EviT1_lT_lT2_lS4_li.num_named_barrier, 0
	.set _ZL19rocblas_copy_kernelIiLi256EP19rocblas_complex_numIdES2_EviT1_lT_lT2_lS4_li.private_seg_size, 0
	.set _ZL19rocblas_copy_kernelIiLi256EP19rocblas_complex_numIdES2_EviT1_lT_lT2_lS4_li.uses_vcc, 1
	.set _ZL19rocblas_copy_kernelIiLi256EP19rocblas_complex_numIdES2_EviT1_lT_lT2_lS4_li.uses_flat_scratch, 0
	.set _ZL19rocblas_copy_kernelIiLi256EP19rocblas_complex_numIdES2_EviT1_lT_lT2_lS4_li.has_dyn_sized_stack, 0
	.set _ZL19rocblas_copy_kernelIiLi256EP19rocblas_complex_numIdES2_EviT1_lT_lT2_lS4_li.has_recursion, 0
	.set _ZL19rocblas_copy_kernelIiLi256EP19rocblas_complex_numIdES2_EviT1_lT_lT2_lS4_li.has_indirect_call, 0
	.section	.AMDGPU.csdata,"",@progbits
; Kernel info:
; codeLenInByte = 356
; TotalNumSgprs: 24
; NumVgprs: 10
; ScratchSize: 0
; MemoryBound: 0
; FloatMode: 240
; IeeeMode: 1
; LDSByteSize: 0 bytes/workgroup (compile time only)
; SGPRBlocks: 0
; VGPRBlocks: 0
; NumSGPRsForWavesPerEU: 24
; NumVGPRsForWavesPerEU: 10
; NamedBarCnt: 0
; Occupancy: 16
; WaveLimiterHint : 0
; COMPUTE_PGM_RSRC2:SCRATCH_EN: 0
; COMPUTE_PGM_RSRC2:USER_SGPR: 2
; COMPUTE_PGM_RSRC2:TRAP_HANDLER: 0
; COMPUTE_PGM_RSRC2:TGID_X_EN: 1
; COMPUTE_PGM_RSRC2:TGID_Y_EN: 0
; COMPUTE_PGM_RSRC2:TGID_Z_EN: 1
; COMPUTE_PGM_RSRC2:TIDIG_COMP_CNT: 0
	.section	.text._ZL20rocblas_tbmvx_kernelILi64ELi16EPK19rocblas_complex_numIdEPS1_Ev18rocblas_operation_bbiiT1_lllS6_T2_llli,"axG",@progbits,_ZL20rocblas_tbmvx_kernelILi64ELi16EPK19rocblas_complex_numIdEPS1_Ev18rocblas_operation_bbiiT1_lllS6_T2_llli,comdat
	.globl	_ZL20rocblas_tbmvx_kernelILi64ELi16EPK19rocblas_complex_numIdEPS1_Ev18rocblas_operation_bbiiT1_lllS6_T2_llli ; -- Begin function _ZL20rocblas_tbmvx_kernelILi64ELi16EPK19rocblas_complex_numIdEPS1_Ev18rocblas_operation_bbiiT1_lllS6_T2_llli
	.p2align	8
	.type	_ZL20rocblas_tbmvx_kernelILi64ELi16EPK19rocblas_complex_numIdEPS1_Ev18rocblas_operation_bbiiT1_lllS6_T2_llli,@function
_ZL20rocblas_tbmvx_kernelILi64ELi16EPK19rocblas_complex_numIdEPS1_Ev18rocblas_operation_bbiiT1_lllS6_T2_llli: ; @_ZL20rocblas_tbmvx_kernelILi64ELi16EPK19rocblas_complex_numIdEPS1_Ev18rocblas_operation_bbiiT1_lllS6_T2_llli
; %bb.0:
	s_load_b64 s[2:3], s[0:1], 0x6c
	s_wait_kmcnt 0x0
	s_lshr_b32 s4, s2, 16
	s_and_b32 s2, s2, 0xffff
	s_and_b32 s3, s3, 0xffff
	s_mul_i32 s4, s4, s2
	s_delay_alu instid0(SALU_CYCLE_1) | instskip(NEXT) | instid1(SALU_CYCLE_1)
	s_mul_i32 s4, s4, s3
	s_cmp_lg_u32 s4, 0x400
	s_cbranch_scc1 .LBB12_63
; %bb.1:
	s_load_b32 s23, s[0:1], 0x58
	s_bfe_u32 s3, ttmp6, 0x40014
	s_lshr_b32 s4, ttmp7, 16
	s_add_co_i32 s3, s3, 1
	s_bfe_u32 s6, ttmp6, 0x40008
	s_mul_i32 s5, s4, s3
	s_getreg_b32 s3, hwreg(HW_REG_IB_STS2, 6, 4)
	s_add_co_i32 s6, s6, s5
	s_cmp_eq_u32 s3, 0
	s_mov_b32 s25, 0
	s_cselect_b32 s24, s4, s6
	s_wait_kmcnt 0x0
	s_cmp_ge_u32 s24, s23
	s_cbranch_scc1 .LBB12_63
; %bb.2:
	s_clause 0x2
	s_load_b512 s[4:19], s[0:1], 0x10
	s_load_b64 s[26:27], s[0:1], 0x0
	s_load_b96 s[20:22], s[0:1], 0x4
	v_and_b32_e32 v1, 0x3ff, v0
	v_bfe_u32 v0, v0, 10, 10
	v_mov_b32_e32 v9, 0
	s_delay_alu instid0(VALU_DEP_2) | instskip(NEXT) | instid1(VALU_DEP_1)
	v_mad_u32_u24 v2, v0, s2, v1
	v_dual_mov_b32 v11, v9 :: v_dual_lshlrev_b32 v21, 4, v2
	v_and_b32_e32 v16, 63, v2
	v_cmp_gt_u32_e32 vcc_lo, 64, v2
	s_wait_kmcnt 0x0
	s_lshl_b64 s[28:29], s[6:7], 4
	s_bitcmp1_b32 s27, 0
	s_mov_b32 s34, s22
	s_cselect_b32 s27, -1, 0
	s_delay_alu instid0(SALU_CYCLE_1)
	s_and_b32 s6, s27, exec_lo
	s_cselect_b32 s35, s22, 0
	s_xor_b32 s33, s27, -1
	s_bitcmp1_b32 s20, 8
	s_cselect_b32 s37, -1, 0
	s_bfe_u32 s2, ttmp6, 0x4000c
	s_and_b32 s6, ttmp6, 15
	s_add_co_i32 s2, s2, 1
	s_lshl_b64 s[30:31], s[16:17], 4
	s_mul_i32 s2, ttmp9, s2
	s_ashr_i32 s7, s21, 31
	s_add_co_i32 s6, s6, s2
	s_cmp_eq_u32 s3, 0
	s_load_b64 s[16:17], s[0:1], 0x50
	s_cselect_b32 s2, ttmp9, s6
	s_add_nc_u64 s[14:15], s[14:15], s[30:31]
	s_lshl_b32 s36, s2, 6
	s_delay_alu instid0(SALU_CYCLE_1) | instskip(SKIP_3) | instid1(VALU_DEP_2)
	v_dual_lshrrev_b32 v10, 6, v2 :: v_dual_add_nc_u32 v0, s36, v2
	v_or_b32_e32 v4, s36, v16
	s_cmp_lg_u32 s26, 0x6f
	s_mov_b32 s6, s21
	v_dual_lshlrev_b32 v8, 4, v10 :: v_dual_ashrrev_i32 v1, 31, v0
	s_delay_alu instid0(VALU_DEP_2)
	v_ashrrev_i32_e32 v5, 31, v4
	v_add3_u32 v22, s35, s36, v16
	v_mul_u64_e32 v[2:3], s[8:9], v[10:11]
	v_cmp_gt_i64_e64 s2, s[8:9], v[10:11]
	v_mul_u64_e32 v[14:15], s[18:19], v[0:1]
	v_mul_u64_e32 v[6:7], s[8:9], v[4:5]
	v_cmp_ge_i32_e64 s3, s22, v10
	s_cselect_b32 s20, -1, 0
	s_cmp_eq_u32 s26, 0x71
	v_add_nc_u64_e32 v[12:13], s[12:13], v[8:9]
	s_wait_xcnt 0x0
	s_cselect_b32 s1, -1, 0
	s_and_b32 s36, s3, s2
	s_and_b32 s3, s27, s37
	s_add_nc_u64 s[18:19], s[4:5], s[28:29]
	s_xor_b32 s38, s3, -1
	v_cmp_gt_i32_e64 s3, s21, v0
	s_xor_b32 s37, s37, -1
	s_cmp_lg_u32 s22, 0
	v_add_nc_u64_e32 v[12:13], 8, v[12:13]
	s_cselect_b32 s26, -1, 0
	v_cmp_gt_i32_e64 s0, s21, v10
	v_cmp_gt_i32_e64 s2, s21, v4
	v_xad_u32 v34, v4, -1, s21
	v_dual_sub_nc_u32 v35, s22, v4 :: v_dual_sub_nc_u32 v36, v22, v10
	v_subrev_nc_u32_e32 v20, s22, v4
	s_ashr_i32 s35, s22, 31
	s_and_b32 s26, s27, s26
	s_and_b32 s39, vcc_lo, s3
	s_nor_b32 s40, s26, s37
	s_lshl_b64 s[26:27], s[8:9], 8
	v_lshl_add_u64 v[2:3], v[2:3], 4, s[18:19]
	v_lshl_add_u64 v[14:15], v[14:15], 4, s[14:15]
	;; [unrolled: 1-line block ×3, first 2 shown]
	s_lshl_b64 s[14:15], s[6:7], 4
	s_delay_alu instid0(VALU_DEP_3) | instskip(SKIP_1) | instid1(VALU_DEP_2)
	v_add_nc_u64_e32 v[18:19], 8, v[2:3]
	s_lshl_b64 s[28:29], s[34:35], 4
	v_add_nc_u64_e32 v[16:17], v[16:17], v[8:9]
	s_delay_alu instid0(VALU_DEP_1) | instskip(SKIP_1) | instid1(VALU_DEP_1)
	v_add_nc_u64_e32 v[0:1], s[4:5], v[16:17]
	s_lshl_b64 s[4:5], s[10:11], 4
	v_add_nc_u64_e32 v[16:17], 8, v[0:1]
	s_branch .LBB12_4
.LBB12_3:                               ;   in Loop: Header=BB12_4 Depth=1
	s_wait_xcnt 0x0
	s_or_b32 exec_lo, exec_lo, s3
	s_add_co_i32 s24, s24, 0x10000
	s_delay_alu instid0(SALU_CYCLE_1)
	s_cmp_lt_u32 s24, s23
	s_cbranch_scc0 .LBB12_63
.LBB12_4:                               ; =>This Loop Header: Depth=1
                                        ;     Child Loop BB12_12 Depth 2
                                        ;     Child Loop BB12_40 Depth 2
	s_mul_u64 s[30:31], s[4:5], s[24:25]
	s_and_b32 vcc_lo, exec_lo, s20
	s_mov_b32 s3, -1
                                        ; implicit-def: $vgpr0_vgpr1
	s_cbranch_vccz .LBB12_35
; %bb.5:                                ;   in Loop: Header=BB12_4 Depth=1
	v_mov_b64_e32 v[0:1], 0
	v_mov_b64_e32 v[2:3], 0
	s_and_saveexec_b32 s41, s36
	s_cbranch_execz .LBB12_34
; %bb.6:                                ;   in Loop: Header=BB12_4 Depth=1
	v_mov_b64_e32 v[2:3], 0
	s_mul_u64 s[34:35], s[10:11], s[24:25]
	s_mul_u64 s[42:43], s[24:25], s[6:7]
	s_lshl_b64 s[34:35], s[34:35], 4
	s_lshl_b64 s[42:43], s[42:43], 4
	v_add_nc_u64_e32 v[22:23], s[30:31], v[16:17]
	s_add_nc_u64 s[44:45], s[18:19], s[34:35]
	s_add_nc_u64 s[34:35], s[12:13], s[42:43]
	v_mov_b64_e32 v[28:29], v[10:11]
	v_mov_b64_e32 v[0:1], v[2:3]
	v_lshl_add_u64 v[24:25], v[6:7], 4, s[44:45]
	v_lshl_add_u64 v[26:27], v[4:5], 4, s[34:35]
	s_mov_b32 s42, 0
	s_branch .LBB12_12
.LBB12_7:                               ;   in Loop: Header=BB12_12 Depth=2
	s_delay_alu instid0(VALU_DEP_1) | instskip(NEXT) | instid1(VALU_DEP_3)
	v_mov_b64_e32 v[2:3], v[32:33]
	v_mov_b64_e32 v[0:1], v[30:31]
.LBB12_8:                               ;   in Loop: Header=BB12_12 Depth=2
	s_wait_xcnt 0x0
	s_or_b32 exec_lo, exec_lo, s44
.LBB12_9:                               ;   in Loop: Header=BB12_12 Depth=2
	s_delay_alu instid0(SALU_CYCLE_1) | instskip(NEXT) | instid1(VALU_DEP_1)
	s_or_b32 exec_lo, exec_lo, s3
	v_mov_b64_e32 v[30:31], v[2:3]
	s_delay_alu instid0(VALU_DEP_2)
	v_mov_b64_e32 v[32:33], v[0:1]
.LBB12_10:                              ;   in Loop: Header=BB12_12 Depth=2
	s_delay_alu instid0(VALU_DEP_1) | instskip(NEXT) | instid1(VALU_DEP_2)
	v_mov_b64_e32 v[0:1], v[32:33]
	v_mov_b64_e32 v[2:3], v[30:31]
.LBB12_11:                              ;   in Loop: Header=BB12_12 Depth=2
	s_or_b32 exec_lo, exec_lo, s43
	v_add_nc_u64_e32 v[28:29], 16, v[28:29]
	v_add_nc_u64_e32 v[22:23], 0x100, v[22:23]
	s_delay_alu instid0(VALU_DEP_2) | instskip(SKIP_1) | instid1(VALU_DEP_2)
	v_mov_b32_e32 v8, v28
	v_cmp_lt_i32_e64 s3, s22, v28
	v_cmp_le_u64_e32 vcc_lo, s[8:9], v[8:9]
	s_or_b32 s3, s3, vcc_lo
	s_delay_alu instid0(SALU_CYCLE_1) | instskip(NEXT) | instid1(SALU_CYCLE_1)
	s_and_b32 s3, exec_lo, s3
	s_or_b32 s42, s3, s42
	s_delay_alu instid0(SALU_CYCLE_1)
	s_and_not1_b32 exec_lo, exec_lo, s42
	s_cbranch_execz .LBB12_33
.LBB12_12:                              ;   Parent Loop BB12_4 Depth=1
                                        ; =>  This Inner Loop Header: Depth=2
	s_and_saveexec_b32 s43, s2
	s_cbranch_execz .LBB12_11
; %bb.13:                               ;   in Loop: Header=BB12_12 Depth=2
	s_and_b32 vcc_lo, exec_lo, s33
	s_mov_b32 s3, -1
                                        ; implicit-def: $vgpr30_vgpr31
                                        ; implicit-def: $vgpr32_vgpr33
	s_cbranch_vccz .LBB12_24
; %bb.14:                               ;   in Loop: Header=BB12_12 Depth=2
	v_cmp_eq_u64_e32 vcc_lo, 0, v[28:29]
	v_cmp_lt_i32_e64 s3, v34, v28
                                        ; implicit-def: $vgpr30_vgpr31
                                        ; implicit-def: $vgpr32_vgpr33
	s_or_b32 s3, vcc_lo, s3
	s_delay_alu instid0(SALU_CYCLE_1) | instskip(NEXT) | instid1(SALU_CYCLE_1)
	s_and_saveexec_b32 s44, s3
	s_xor_b32 s3, exec_lo, s44
	s_cbranch_execz .LBB12_21
; %bb.15:                               ;   in Loop: Header=BB12_12 Depth=2
	v_mov_b64_e32 v[30:31], v[2:3]
	v_mov_b64_e32 v[32:33], v[0:1]
	s_mov_b32 s44, exec_lo
	v_cmpx_eq_u64_e32 0, v[28:29]
	s_cbranch_execz .LBB12_20
; %bb.16:                               ;   in Loop: Header=BB12_12 Depth=2
	s_and_b32 vcc_lo, exec_lo, s37
	s_mov_b32 s45, -1
                                        ; implicit-def: $vgpr30_vgpr31
                                        ; implicit-def: $vgpr32_vgpr33
	s_cbranch_vccz .LBB12_18
; %bb.17:                               ;   in Loop: Header=BB12_12 Depth=2
	global_load_b128 v[30:33], v[24:25], off
	global_load_b128 v[38:41], v[26:27], off
	s_mov_b32 s45, 0
	s_wait_loadcnt 0x1
	v_xor_b32_e32 v8, 0x80000000, v33
	s_delay_alu instid0(VALU_DEP_1) | instskip(SKIP_1) | instid1(VALU_DEP_1)
	v_cndmask_b32_e64 v33, v33, v8, s1
	s_wait_loadcnt 0x0
	v_mul_f64_e32 v[42:43], v[32:33], v[40:41]
	v_mul_f64_e32 v[40:41], v[30:31], v[40:41]
	s_delay_alu instid0(VALU_DEP_2) | instskip(NEXT) | instid1(VALU_DEP_2)
	v_fma_f64 v[30:31], v[30:31], v[38:39], -v[42:43]
	v_fmac_f64_e32 v[40:41], v[32:33], v[38:39]
	s_delay_alu instid0(VALU_DEP_2) | instskip(NEXT) | instid1(VALU_DEP_2)
	v_add_f64_e32 v[32:33], v[0:1], v[30:31]
	v_add_f64_e32 v[30:31], v[2:3], v[40:41]
.LBB12_18:                              ;   in Loop: Header=BB12_12 Depth=2
	s_and_not1_b32 vcc_lo, exec_lo, s45
	s_cbranch_vccnz .LBB12_20
; %bb.19:                               ;   in Loop: Header=BB12_12 Depth=2
	global_load_b128 v[38:41], v[26:27], off
	s_wait_loadcnt 0x0
	v_add_f64_e32 v[32:33], v[0:1], v[38:39]
	v_add_f64_e32 v[30:31], v[2:3], v[40:41]
.LBB12_20:                              ;   in Loop: Header=BB12_12 Depth=2
	s_wait_xcnt 0x0
	s_or_b32 exec_lo, exec_lo, s44
.LBB12_21:                              ;   in Loop: Header=BB12_12 Depth=2
	s_and_not1_saveexec_b32 s3, s3
	s_cbranch_execz .LBB12_23
; %bb.22:                               ;   in Loop: Header=BB12_12 Depth=2
	global_load_b128 v[30:33], v[22:23], off offset:-8
	v_add_nc_u32_e32 v8, v4, v28
	global_load_b128 v[38:41], v8, s[34:35] scale_offset
	s_wait_loadcnt 0x1
	s_wait_xcnt 0x0
	v_xor_b32_e32 v8, 0x80000000, v33
	s_delay_alu instid0(VALU_DEP_1) | instskip(SKIP_1) | instid1(VALU_DEP_1)
	v_cndmask_b32_e64 v33, v33, v8, s1
	s_wait_loadcnt 0x0
	v_mul_f64_e32 v[42:43], v[32:33], v[40:41]
	v_mul_f64_e32 v[40:41], v[30:31], v[40:41]
	s_delay_alu instid0(VALU_DEP_2) | instskip(NEXT) | instid1(VALU_DEP_2)
	v_fma_f64 v[30:31], v[30:31], v[38:39], -v[42:43]
	v_fmac_f64_e32 v[40:41], v[32:33], v[38:39]
	s_delay_alu instid0(VALU_DEP_2) | instskip(NEXT) | instid1(VALU_DEP_2)
	v_add_f64_e32 v[32:33], v[0:1], v[30:31]
	v_add_f64_e32 v[30:31], v[2:3], v[40:41]
.LBB12_23:                              ;   in Loop: Header=BB12_12 Depth=2
	s_or_b32 exec_lo, exec_lo, s3
	s_mov_b32 s3, 0
.LBB12_24:                              ;   in Loop: Header=BB12_12 Depth=2
	s_delay_alu instid0(SALU_CYCLE_1)
	s_and_not1_b32 vcc_lo, exec_lo, s3
	s_cbranch_vccnz .LBB12_10
; %bb.25:                               ;   in Loop: Header=BB12_12 Depth=2
	v_cmp_gt_i32_e32 vcc_lo, s22, v28
	v_cmp_le_i32_e64 s3, v35, v28
	s_and_b32 s3, vcc_lo, s3
	s_delay_alu instid0(SALU_CYCLE_1) | instskip(NEXT) | instid1(SALU_CYCLE_1)
	s_and_saveexec_b32 s44, s3
	s_xor_b32 s3, exec_lo, s44
	s_cbranch_execz .LBB12_27
; %bb.26:                               ;   in Loop: Header=BB12_12 Depth=2
	global_load_b128 v[30:33], v[22:23], off offset:-8
	v_add_nc_u32_e32 v8, v20, v28
	global_load_b128 v[38:41], v8, s[34:35] scale_offset
	s_wait_loadcnt 0x1
	s_wait_xcnt 0x0
	v_xor_b32_e32 v8, 0x80000000, v33
	s_delay_alu instid0(VALU_DEP_1) | instskip(SKIP_1) | instid1(VALU_DEP_1)
	v_cndmask_b32_e64 v33, v33, v8, s1
	s_wait_loadcnt 0x0
	v_mul_f64_e32 v[42:43], v[32:33], v[40:41]
	v_mul_f64_e32 v[40:41], v[30:31], v[40:41]
	s_delay_alu instid0(VALU_DEP_2) | instskip(NEXT) | instid1(VALU_DEP_2)
	v_fma_f64 v[30:31], v[30:31], v[38:39], -v[42:43]
	v_fmac_f64_e32 v[40:41], v[32:33], v[38:39]
	s_delay_alu instid0(VALU_DEP_2) | instskip(NEXT) | instid1(VALU_DEP_2)
	v_add_f64_e32 v[0:1], v[0:1], v[30:31]
	v_add_f64_e32 v[2:3], v[2:3], v[40:41]
.LBB12_27:                              ;   in Loop: Header=BB12_12 Depth=2
	s_and_not1_saveexec_b32 s3, s3
	s_cbranch_execz .LBB12_9
; %bb.28:                               ;   in Loop: Header=BB12_12 Depth=2
	s_mov_b32 s44, exec_lo
	v_cmpx_eq_u32_e64 s22, v28
	s_cbranch_execz .LBB12_8
; %bb.29:                               ;   in Loop: Header=BB12_12 Depth=2
	s_and_b32 vcc_lo, exec_lo, s37
	s_mov_b32 s45, -1
                                        ; implicit-def: $vgpr32_vgpr33
                                        ; implicit-def: $vgpr30_vgpr31
	s_cbranch_vccz .LBB12_31
; %bb.30:                               ;   in Loop: Header=BB12_12 Depth=2
	global_load_b128 v[30:33], v[22:23], off offset:-8
	global_load_b128 v[38:41], v[26:27], off
	s_mov_b32 s45, 0
	s_wait_loadcnt 0x1
	v_xor_b32_e32 v8, 0x80000000, v33
	s_delay_alu instid0(VALU_DEP_1) | instskip(SKIP_1) | instid1(VALU_DEP_1)
	v_cndmask_b32_e64 v33, v33, v8, s1
	s_wait_loadcnt 0x0
	v_mul_f64_e32 v[42:43], v[32:33], v[40:41]
	v_mul_f64_e32 v[40:41], v[30:31], v[40:41]
	s_delay_alu instid0(VALU_DEP_2) | instskip(NEXT) | instid1(VALU_DEP_2)
	v_fma_f64 v[30:31], v[30:31], v[38:39], -v[42:43]
	v_fmac_f64_e32 v[40:41], v[32:33], v[38:39]
	s_delay_alu instid0(VALU_DEP_2) | instskip(NEXT) | instid1(VALU_DEP_2)
	v_add_f64_e32 v[30:31], v[0:1], v[30:31]
	v_add_f64_e32 v[32:33], v[2:3], v[40:41]
.LBB12_31:                              ;   in Loop: Header=BB12_12 Depth=2
	s_and_not1_b32 vcc_lo, exec_lo, s45
	s_cbranch_vccnz .LBB12_7
; %bb.32:                               ;   in Loop: Header=BB12_12 Depth=2
	global_load_b128 v[30:33], v[26:27], off
	s_wait_loadcnt 0x0
	v_add_f64_e32 v[30:31], v[0:1], v[30:31]
	v_add_f64_e32 v[32:33], v[2:3], v[32:33]
	s_branch .LBB12_7
.LBB12_33:                              ;   in Loop: Header=BB12_4 Depth=1
	s_or_b32 exec_lo, exec_lo, s42
.LBB12_34:                              ;   in Loop: Header=BB12_4 Depth=1
	s_delay_alu instid0(SALU_CYCLE_1)
	s_or_b32 exec_lo, exec_lo, s41
	s_mov_b32 s3, 0
.LBB12_35:                              ;   in Loop: Header=BB12_4 Depth=1
	s_delay_alu instid0(SALU_CYCLE_1)
	s_and_not1_b32 vcc_lo, exec_lo, s3
	s_cbranch_vccnz .LBB12_61
; %bb.36:                               ;   in Loop: Header=BB12_4 Depth=1
	v_mov_b64_e32 v[0:1], 0
	v_mov_b64_e32 v[2:3], 0
	s_and_saveexec_b32 s34, s0
	s_cbranch_execz .LBB12_60
; %bb.37:                               ;   in Loop: Header=BB12_4 Depth=1
	v_mad_nc_u64_u32 v[22:23], s14, s24, v[12:13]
	v_mov_b64_e32 v[2:3], 0
	v_add_nc_u64_e32 v[24:25], s[30:31], v[18:19]
	v_dual_mov_b32 v8, v36 :: v_dual_mov_b32 v30, v10
	s_mov_b32 s30, 0
	s_delay_alu instid0(VALU_DEP_3)
	v_mov_b64_e32 v[0:1], v[2:3]
	v_mad_u32 v23, s15, s24, v23
	s_branch .LBB12_40
.LBB12_38:                              ;   in Loop: Header=BB12_40 Depth=2
	s_or_b32 exec_lo, exec_lo, s3
.LBB12_39:                              ;   in Loop: Header=BB12_40 Depth=2
	s_delay_alu instid0(SALU_CYCLE_1) | instskip(SKIP_1) | instid1(VALU_DEP_2)
	s_or_b32 exec_lo, exec_lo, s31
	v_dual_add_nc_u32 v30, 16, v30 :: v_dual_add_nc_u32 v8, -16, v8
	v_add_nc_u64_e32 v[22:23], 0x100, v[22:23]
	v_add_nc_u64_e32 v[24:25], s[26:27], v[24:25]
	s_delay_alu instid0(VALU_DEP_3) | instskip(SKIP_1) | instid1(SALU_CYCLE_1)
	v_cmp_le_i32_e32 vcc_lo, s21, v30
	s_or_b32 s30, vcc_lo, s30
	s_and_not1_b32 exec_lo, exec_lo, s30
	s_cbranch_execz .LBB12_59
.LBB12_40:                              ;   Parent Loop BB12_4 Depth=1
                                        ; =>  This Inner Loop Header: Depth=2
	s_and_saveexec_b32 s31, s2
	s_cbranch_execz .LBB12_39
; %bb.41:                               ;   in Loop: Header=BB12_40 Depth=2
	v_cmp_le_i32_e32 vcc_lo, s22, v8
	v_cmp_gt_i32_e64 s3, 1, v8
	s_or_b32 s3, vcc_lo, s3
	s_delay_alu instid0(SALU_CYCLE_1) | instskip(NEXT) | instid1(SALU_CYCLE_1)
	s_and_saveexec_b32 s35, s3
	s_xor_b32 s3, exec_lo, s35
	s_cbranch_execz .LBB12_57
; %bb.42:                               ;   in Loop: Header=BB12_40 Depth=2
	s_mov_b32 s35, exec_lo
	v_cmpx_ne_u32_e32 0, v8
	s_xor_b32 s35, exec_lo, s35
	s_cbranch_execz .LBB12_50
; %bb.43:                               ;   in Loop: Header=BB12_40 Depth=2
	s_mov_b32 s41, exec_lo
	v_cmpx_eq_u32_e64 s22, v8
	s_cbranch_execz .LBB12_49
; %bb.44:                               ;   in Loop: Header=BB12_40 Depth=2
	s_and_b32 vcc_lo, exec_lo, s38
	s_mov_b32 s42, -1
                                        ; implicit-def: $vgpr28_vgpr29
                                        ; implicit-def: $vgpr26_vgpr27
	s_cbranch_vccz .LBB12_46
; %bb.45:                               ;   in Loop: Header=BB12_40 Depth=2
	v_add_nc_u64_e32 v[32:33], s[28:29], v[24:25]
	s_mov_b32 s42, 0
	global_load_b128 v[26:29], v[22:23], off offset:-8
	global_load_b128 v[38:41], v[32:33], off offset:-8
	s_wait_loadcnt 0x0
	s_wait_xcnt 0x0
	v_mul_f64_e32 v[32:33], v[28:29], v[40:41]
	v_mul_f64_e32 v[40:41], v[26:27], v[40:41]
	s_delay_alu instid0(VALU_DEP_2) | instskip(NEXT) | instid1(VALU_DEP_2)
	v_fma_f64 v[26:27], v[26:27], v[38:39], -v[32:33]
	v_fmac_f64_e32 v[40:41], v[28:29], v[38:39]
	s_delay_alu instid0(VALU_DEP_2) | instskip(NEXT) | instid1(VALU_DEP_2)
	v_add_f64_e32 v[26:27], v[0:1], v[26:27]
	v_add_f64_e32 v[28:29], v[2:3], v[40:41]
.LBB12_46:                              ;   in Loop: Header=BB12_40 Depth=2
	s_and_not1_b32 vcc_lo, exec_lo, s42
	s_cbranch_vccnz .LBB12_48
; %bb.47:                               ;   in Loop: Header=BB12_40 Depth=2
	global_load_b128 v[26:29], v[22:23], off offset:-8
	s_wait_loadcnt 0x0
	v_add_f64_e32 v[26:27], v[0:1], v[26:27]
	v_add_f64_e32 v[28:29], v[2:3], v[28:29]
.LBB12_48:                              ;   in Loop: Header=BB12_40 Depth=2
	s_delay_alu instid0(VALU_DEP_1) | instskip(NEXT) | instid1(VALU_DEP_3)
	v_mov_b64_e32 v[2:3], v[28:29]
	v_mov_b64_e32 v[0:1], v[26:27]
.LBB12_49:                              ;   in Loop: Header=BB12_40 Depth=2
	s_wait_xcnt 0x0
	s_or_b32 exec_lo, exec_lo, s41
.LBB12_50:                              ;   in Loop: Header=BB12_40 Depth=2
	s_and_not1_saveexec_b32 s35, s35
	s_cbranch_execz .LBB12_56
; %bb.51:                               ;   in Loop: Header=BB12_40 Depth=2
	s_and_not1_b32 vcc_lo, exec_lo, s40
	s_mov_b32 s41, -1
                                        ; implicit-def: $vgpr28_vgpr29
                                        ; implicit-def: $vgpr26_vgpr27
	s_cbranch_vccnz .LBB12_53
; %bb.52:                               ;   in Loop: Header=BB12_40 Depth=2
	global_load_b128 v[26:29], v[22:23], off offset:-8
	s_mov_b32 s41, 0
	s_wait_loadcnt 0x0
	v_add_f64_e32 v[26:27], v[0:1], v[26:27]
	v_add_f64_e32 v[28:29], v[2:3], v[28:29]
.LBB12_53:                              ;   in Loop: Header=BB12_40 Depth=2
	s_and_not1_b32 vcc_lo, exec_lo, s41
	s_cbranch_vccnz .LBB12_55
; %bb.54:                               ;   in Loop: Header=BB12_40 Depth=2
	global_load_b128 v[26:29], v[22:23], off offset:-8
	global_load_b128 v[38:41], v[24:25], off offset:-8
	s_wait_loadcnt 0x0
	v_mul_f64_e32 v[32:33], v[28:29], v[40:41]
	v_mul_f64_e32 v[40:41], v[26:27], v[40:41]
	s_delay_alu instid0(VALU_DEP_2) | instskip(NEXT) | instid1(VALU_DEP_2)
	v_fma_f64 v[26:27], v[26:27], v[38:39], -v[32:33]
	v_fmac_f64_e32 v[40:41], v[28:29], v[38:39]
	s_delay_alu instid0(VALU_DEP_2) | instskip(NEXT) | instid1(VALU_DEP_2)
	v_add_f64_e32 v[26:27], v[0:1], v[26:27]
	v_add_f64_e32 v[28:29], v[2:3], v[40:41]
.LBB12_55:                              ;   in Loop: Header=BB12_40 Depth=2
	s_delay_alu instid0(VALU_DEP_1) | instskip(NEXT) | instid1(VALU_DEP_3)
	v_mov_b64_e32 v[2:3], v[28:29]
	v_mov_b64_e32 v[0:1], v[26:27]
.LBB12_56:                              ;   in Loop: Header=BB12_40 Depth=2
	s_wait_xcnt 0x0
	s_or_b32 exec_lo, exec_lo, s35
.LBB12_57:                              ;   in Loop: Header=BB12_40 Depth=2
	s_and_not1_saveexec_b32 s3, s3
	s_cbranch_execz .LBB12_38
; %bb.58:                               ;   in Loop: Header=BB12_40 Depth=2
	v_lshl_add_u64 v[32:33], v[8:9], 4, v[24:25]
	global_load_b128 v[26:29], v[22:23], off offset:-8
	global_load_b128 v[38:41], v[32:33], off offset:-8
	s_wait_loadcnt 0x0
	s_wait_xcnt 0x0
	v_mul_f64_e32 v[32:33], v[28:29], v[40:41]
	v_mul_f64_e32 v[40:41], v[26:27], v[40:41]
	s_delay_alu instid0(VALU_DEP_2) | instskip(NEXT) | instid1(VALU_DEP_2)
	v_fma_f64 v[26:27], v[26:27], v[38:39], -v[32:33]
	v_fmac_f64_e32 v[40:41], v[28:29], v[38:39]
	s_delay_alu instid0(VALU_DEP_2) | instskip(NEXT) | instid1(VALU_DEP_2)
	v_add_f64_e32 v[0:1], v[0:1], v[26:27]
	v_add_f64_e32 v[2:3], v[2:3], v[40:41]
	s_branch .LBB12_38
.LBB12_59:                              ;   in Loop: Header=BB12_4 Depth=1
	s_or_b32 exec_lo, exec_lo, s30
.LBB12_60:                              ;   in Loop: Header=BB12_4 Depth=1
	s_delay_alu instid0(SALU_CYCLE_1)
	s_or_b32 exec_lo, exec_lo, s34
.LBB12_61:                              ;   in Loop: Header=BB12_4 Depth=1
	ds_store_b128 v21, v[0:3]
	s_wait_dscnt 0x0
	s_barrier_signal -1
	s_barrier_wait -1
	s_and_saveexec_b32 s3, s39
	s_cbranch_execz .LBB12_3
; %bb.62:                               ;   in Loop: Header=BB12_4 Depth=1
	ds_load_b128 v[0:3], v21
	ds_load_b128 v[22:25], v21 offset:1024
	s_wait_kmcnt 0x0
	s_mul_u64 s[30:31], s[16:17], s[24:25]
	s_wait_dscnt 0x0
	v_add_f64_e32 v[26:27], v[0:1], v[22:23]
	v_add_f64_e32 v[28:29], v[2:3], v[24:25]
	ds_load_b128 v[0:3], v21 offset:2048
	ds_load_b128 v[22:25], v21 offset:3072
	s_wait_dscnt 0x1
	v_add_f64_e32 v[0:1], v[26:27], v[0:1]
	v_add_f64_e32 v[2:3], v[28:29], v[2:3]
	s_wait_dscnt 0x0
	s_delay_alu instid0(VALU_DEP_2) | instskip(NEXT) | instid1(VALU_DEP_2)
	v_add_f64_e32 v[26:27], v[0:1], v[22:23]
	v_add_f64_e32 v[28:29], v[2:3], v[24:25]
	ds_load_b128 v[0:3], v21 offset:4096
	ds_load_b128 v[22:25], v21 offset:5120
	s_wait_dscnt 0x1
	v_add_f64_e32 v[0:1], v[26:27], v[0:1]
	v_add_f64_e32 v[2:3], v[28:29], v[2:3]
	s_wait_dscnt 0x0
	s_delay_alu instid0(VALU_DEP_2) | instskip(NEXT) | instid1(VALU_DEP_2)
	;; [unrolled: 9-line block ×7, first 2 shown]
	v_add_f64_e32 v[0:1], v[0:1], v[22:23]
	v_add_f64_e32 v[2:3], v[2:3], v[24:25]
	v_lshl_add_u64 v[22:23], s[30:31], 4, v[14:15]
	ds_store_b128 v21, v[0:3]
	global_store_b128 v[22:23], v[0:3], off
	s_branch .LBB12_3
.LBB12_63:
	s_endpgm
	.section	.rodata,"a",@progbits
	.p2align	6, 0x0
	.amdhsa_kernel _ZL20rocblas_tbmvx_kernelILi64ELi16EPK19rocblas_complex_numIdEPS1_Ev18rocblas_operation_bbiiT1_lllS6_T2_llli
		.amdhsa_group_segment_fixed_size 16384
		.amdhsa_private_segment_fixed_size 0
		.amdhsa_kernarg_size 352
		.amdhsa_user_sgpr_count 2
		.amdhsa_user_sgpr_dispatch_ptr 0
		.amdhsa_user_sgpr_queue_ptr 0
		.amdhsa_user_sgpr_kernarg_segment_ptr 1
		.amdhsa_user_sgpr_dispatch_id 0
		.amdhsa_user_sgpr_kernarg_preload_length 0
		.amdhsa_user_sgpr_kernarg_preload_offset 0
		.amdhsa_user_sgpr_private_segment_size 0
		.amdhsa_wavefront_size32 1
		.amdhsa_uses_dynamic_stack 0
		.amdhsa_enable_private_segment 0
		.amdhsa_system_sgpr_workgroup_id_x 1
		.amdhsa_system_sgpr_workgroup_id_y 0
		.amdhsa_system_sgpr_workgroup_id_z 1
		.amdhsa_system_sgpr_workgroup_info 0
		.amdhsa_system_vgpr_workitem_id 1
		.amdhsa_next_free_vgpr 44
		.amdhsa_next_free_sgpr 46
		.amdhsa_named_barrier_count 0
		.amdhsa_reserve_vcc 1
		.amdhsa_float_round_mode_32 0
		.amdhsa_float_round_mode_16_64 0
		.amdhsa_float_denorm_mode_32 3
		.amdhsa_float_denorm_mode_16_64 3
		.amdhsa_fp16_overflow 0
		.amdhsa_memory_ordered 1
		.amdhsa_forward_progress 1
		.amdhsa_inst_pref_size 20
		.amdhsa_round_robin_scheduling 0
		.amdhsa_exception_fp_ieee_invalid_op 0
		.amdhsa_exception_fp_denorm_src 0
		.amdhsa_exception_fp_ieee_div_zero 0
		.amdhsa_exception_fp_ieee_overflow 0
		.amdhsa_exception_fp_ieee_underflow 0
		.amdhsa_exception_fp_ieee_inexact 0
		.amdhsa_exception_int_div_zero 0
	.end_amdhsa_kernel
	.section	.text._ZL20rocblas_tbmvx_kernelILi64ELi16EPK19rocblas_complex_numIdEPS1_Ev18rocblas_operation_bbiiT1_lllS6_T2_llli,"axG",@progbits,_ZL20rocblas_tbmvx_kernelILi64ELi16EPK19rocblas_complex_numIdEPS1_Ev18rocblas_operation_bbiiT1_lllS6_T2_llli,comdat
.Lfunc_end12:
	.size	_ZL20rocblas_tbmvx_kernelILi64ELi16EPK19rocblas_complex_numIdEPS1_Ev18rocblas_operation_bbiiT1_lllS6_T2_llli, .Lfunc_end12-_ZL20rocblas_tbmvx_kernelILi64ELi16EPK19rocblas_complex_numIdEPS1_Ev18rocblas_operation_bbiiT1_lllS6_T2_llli
                                        ; -- End function
	.set _ZL20rocblas_tbmvx_kernelILi64ELi16EPK19rocblas_complex_numIdEPS1_Ev18rocblas_operation_bbiiT1_lllS6_T2_llli.num_vgpr, 44
	.set _ZL20rocblas_tbmvx_kernelILi64ELi16EPK19rocblas_complex_numIdEPS1_Ev18rocblas_operation_bbiiT1_lllS6_T2_llli.num_agpr, 0
	.set _ZL20rocblas_tbmvx_kernelILi64ELi16EPK19rocblas_complex_numIdEPS1_Ev18rocblas_operation_bbiiT1_lllS6_T2_llli.numbered_sgpr, 46
	.set _ZL20rocblas_tbmvx_kernelILi64ELi16EPK19rocblas_complex_numIdEPS1_Ev18rocblas_operation_bbiiT1_lllS6_T2_llli.num_named_barrier, 0
	.set _ZL20rocblas_tbmvx_kernelILi64ELi16EPK19rocblas_complex_numIdEPS1_Ev18rocblas_operation_bbiiT1_lllS6_T2_llli.private_seg_size, 0
	.set _ZL20rocblas_tbmvx_kernelILi64ELi16EPK19rocblas_complex_numIdEPS1_Ev18rocblas_operation_bbiiT1_lllS6_T2_llli.uses_vcc, 1
	.set _ZL20rocblas_tbmvx_kernelILi64ELi16EPK19rocblas_complex_numIdEPS1_Ev18rocblas_operation_bbiiT1_lllS6_T2_llli.uses_flat_scratch, 0
	.set _ZL20rocblas_tbmvx_kernelILi64ELi16EPK19rocblas_complex_numIdEPS1_Ev18rocblas_operation_bbiiT1_lllS6_T2_llli.has_dyn_sized_stack, 0
	.set _ZL20rocblas_tbmvx_kernelILi64ELi16EPK19rocblas_complex_numIdEPS1_Ev18rocblas_operation_bbiiT1_lllS6_T2_llli.has_recursion, 0
	.set _ZL20rocblas_tbmvx_kernelILi64ELi16EPK19rocblas_complex_numIdEPS1_Ev18rocblas_operation_bbiiT1_lllS6_T2_llli.has_indirect_call, 0
	.section	.AMDGPU.csdata,"",@progbits
; Kernel info:
; codeLenInByte = 2464
; TotalNumSgprs: 48
; NumVgprs: 44
; ScratchSize: 0
; MemoryBound: 1
; FloatMode: 240
; IeeeMode: 1
; LDSByteSize: 16384 bytes/workgroup (compile time only)
; SGPRBlocks: 0
; VGPRBlocks: 2
; NumSGPRsForWavesPerEU: 48
; NumVGPRsForWavesPerEU: 44
; NamedBarCnt: 0
; Occupancy: 16
; WaveLimiterHint : 1
; COMPUTE_PGM_RSRC2:SCRATCH_EN: 0
; COMPUTE_PGM_RSRC2:USER_SGPR: 2
; COMPUTE_PGM_RSRC2:TRAP_HANDLER: 0
; COMPUTE_PGM_RSRC2:TGID_X_EN: 1
; COMPUTE_PGM_RSRC2:TGID_Y_EN: 0
; COMPUTE_PGM_RSRC2:TGID_Z_EN: 1
; COMPUTE_PGM_RSRC2:TIDIG_COMP_CNT: 1
	.section	.text._ZL19rocblas_copy_kernelIlLi256EPKPfS2_EviT1_lT_lT2_lS4_li,"axG",@progbits,_ZL19rocblas_copy_kernelIlLi256EPKPfS2_EviT1_lT_lT2_lS4_li,comdat
	.globl	_ZL19rocblas_copy_kernelIlLi256EPKPfS2_EviT1_lT_lT2_lS4_li ; -- Begin function _ZL19rocblas_copy_kernelIlLi256EPKPfS2_EviT1_lT_lT2_lS4_li
	.p2align	8
	.type	_ZL19rocblas_copy_kernelIlLi256EPKPfS2_EviT1_lT_lT2_lS4_li,@function
_ZL19rocblas_copy_kernelIlLi256EPKPfS2_EviT1_lT_lT2_lS4_li: ; @_ZL19rocblas_copy_kernelIlLi256EPKPfS2_EviT1_lT_lT2_lS4_li
; %bb.0:
	s_load_b32 s12, s[0:1], 0x48
	s_bfe_u32 s2, ttmp6, 0x40014
	s_lshr_b32 s3, ttmp7, 16
	s_add_co_i32 s2, s2, 1
	s_bfe_u32 s5, ttmp6, 0x40008
	s_mul_i32 s4, s3, s2
	s_getreg_b32 s2, hwreg(HW_REG_IB_STS2, 6, 4)
	s_add_co_i32 s5, s5, s4
	s_cmp_eq_u32 s2, 0
	s_cselect_b32 s13, s3, s5
	s_wait_kmcnt 0x0
	s_cmp_ge_u32 s13, s12
	s_cbranch_scc1 .LBB13_5
; %bb.1:
	s_clause 0x2
	s_load_b32 s14, s[0:1], 0x0
	s_load_b64 s[16:17], s[0:1], 0x18
	s_load_b64 s[18:19], s[0:1], 0x38
	s_bfe_u32 s3, ttmp6, 0x4000c
	s_and_b32 s8, ttmp6, 15
	s_add_co_i32 s3, s3, 1
	v_mov_b32_e32 v5, 0
	s_mul_i32 s3, ttmp9, s3
	s_load_b128 s[4:7], s[0:1], 0x8
	s_add_co_i32 s8, s8, s3
	s_wait_kmcnt 0x0
	s_ashr_i32 s15, s14, 31
	s_cmp_eq_u32 s2, 0
	s_cselect_b32 s2, ttmp9, s8
	s_load_b128 s[8:11], s[0:1], 0x28
	v_lshl_or_b32 v4, s2, 8, v0
	s_lshl_b64 s[2:3], s[6:7], 2
	s_delay_alu instid0(VALU_DEP_1)
	v_mul_u64_e32 v[0:1], s[16:17], v[4:5]
	v_mul_u64_e32 v[2:3], s[18:19], v[4:5]
	v_cmp_gt_i64_e32 vcc_lo, s[14:15], v[4:5]
	s_wait_kmcnt 0x0
	s_lshl_b64 s[0:1], s[10:11], 2
	s_branch .LBB13_3
.LBB13_2:                               ;   in Loop: Header=BB13_3 Depth=1
	s_wait_xcnt 0x0
	s_or_b32 exec_lo, exec_lo, s6
	s_add_co_i32 s13, s13, 0x10000
	s_delay_alu instid0(SALU_CYCLE_1)
	s_cmp_lt_u32 s13, s12
	s_cbranch_scc0 .LBB13_5
.LBB13_3:                               ; =>This Inner Loop Header: Depth=1
	s_and_saveexec_b32 s6, vcc_lo
	s_cbranch_execz .LBB13_2
; %bb.4:                                ;   in Loop: Header=BB13_3 Depth=1
	s_load_b64 s[10:11], s[4:5], s13 offset:0x0 scale_offset
	s_wait_kmcnt 0x0
	s_add_nc_u64 s[10:11], s[10:11], s[2:3]
	s_delay_alu instid0(VALU_DEP_3) | instid1(SALU_CYCLE_1)
	v_lshl_add_u64 v[4:5], v[0:1], 2, s[10:11]
	s_load_b64 s[10:11], s[8:9], s13 offset:0x0 scale_offset
	flat_load_b32 v6, v[4:5]
	s_wait_kmcnt 0x0
	s_add_nc_u64 s[10:11], s[10:11], s[0:1]
	s_wait_xcnt 0x0
	v_lshl_add_u64 v[4:5], v[2:3], 2, s[10:11]
	s_wait_loadcnt_dscnt 0x0
	flat_store_b32 v[4:5], v6
	s_branch .LBB13_2
.LBB13_5:
	s_endpgm
	.section	.rodata,"a",@progbits
	.p2align	6, 0x0
	.amdhsa_kernel _ZL19rocblas_copy_kernelIlLi256EPKPfS2_EviT1_lT_lT2_lS4_li
		.amdhsa_group_segment_fixed_size 0
		.amdhsa_private_segment_fixed_size 0
		.amdhsa_kernarg_size 76
		.amdhsa_user_sgpr_count 2
		.amdhsa_user_sgpr_dispatch_ptr 0
		.amdhsa_user_sgpr_queue_ptr 0
		.amdhsa_user_sgpr_kernarg_segment_ptr 1
		.amdhsa_user_sgpr_dispatch_id 0
		.amdhsa_user_sgpr_kernarg_preload_length 0
		.amdhsa_user_sgpr_kernarg_preload_offset 0
		.amdhsa_user_sgpr_private_segment_size 0
		.amdhsa_wavefront_size32 1
		.amdhsa_uses_dynamic_stack 0
		.amdhsa_enable_private_segment 0
		.amdhsa_system_sgpr_workgroup_id_x 1
		.amdhsa_system_sgpr_workgroup_id_y 0
		.amdhsa_system_sgpr_workgroup_id_z 1
		.amdhsa_system_sgpr_workgroup_info 0
		.amdhsa_system_vgpr_workitem_id 0
		.amdhsa_next_free_vgpr 7
		.amdhsa_next_free_sgpr 20
		.amdhsa_named_barrier_count 0
		.amdhsa_reserve_vcc 1
		.amdhsa_float_round_mode_32 0
		.amdhsa_float_round_mode_16_64 0
		.amdhsa_float_denorm_mode_32 3
		.amdhsa_float_denorm_mode_16_64 3
		.amdhsa_fp16_overflow 0
		.amdhsa_memory_ordered 1
		.amdhsa_forward_progress 1
		.amdhsa_inst_pref_size 3
		.amdhsa_round_robin_scheduling 0
		.amdhsa_exception_fp_ieee_invalid_op 0
		.amdhsa_exception_fp_denorm_src 0
		.amdhsa_exception_fp_ieee_div_zero 0
		.amdhsa_exception_fp_ieee_overflow 0
		.amdhsa_exception_fp_ieee_underflow 0
		.amdhsa_exception_fp_ieee_inexact 0
		.amdhsa_exception_int_div_zero 0
	.end_amdhsa_kernel
	.section	.text._ZL19rocblas_copy_kernelIlLi256EPKPfS2_EviT1_lT_lT2_lS4_li,"axG",@progbits,_ZL19rocblas_copy_kernelIlLi256EPKPfS2_EviT1_lT_lT2_lS4_li,comdat
.Lfunc_end13:
	.size	_ZL19rocblas_copy_kernelIlLi256EPKPfS2_EviT1_lT_lT2_lS4_li, .Lfunc_end13-_ZL19rocblas_copy_kernelIlLi256EPKPfS2_EviT1_lT_lT2_lS4_li
                                        ; -- End function
	.set _ZL19rocblas_copy_kernelIlLi256EPKPfS2_EviT1_lT_lT2_lS4_li.num_vgpr, 7
	.set _ZL19rocblas_copy_kernelIlLi256EPKPfS2_EviT1_lT_lT2_lS4_li.num_agpr, 0
	.set _ZL19rocblas_copy_kernelIlLi256EPKPfS2_EviT1_lT_lT2_lS4_li.numbered_sgpr, 20
	.set _ZL19rocblas_copy_kernelIlLi256EPKPfS2_EviT1_lT_lT2_lS4_li.num_named_barrier, 0
	.set _ZL19rocblas_copy_kernelIlLi256EPKPfS2_EviT1_lT_lT2_lS4_li.private_seg_size, 0
	.set _ZL19rocblas_copy_kernelIlLi256EPKPfS2_EviT1_lT_lT2_lS4_li.uses_vcc, 1
	.set _ZL19rocblas_copy_kernelIlLi256EPKPfS2_EviT1_lT_lT2_lS4_li.uses_flat_scratch, 0
	.set _ZL19rocblas_copy_kernelIlLi256EPKPfS2_EviT1_lT_lT2_lS4_li.has_dyn_sized_stack, 0
	.set _ZL19rocblas_copy_kernelIlLi256EPKPfS2_EviT1_lT_lT2_lS4_li.has_recursion, 0
	.set _ZL19rocblas_copy_kernelIlLi256EPKPfS2_EviT1_lT_lT2_lS4_li.has_indirect_call, 0
	.section	.AMDGPU.csdata,"",@progbits
; Kernel info:
; codeLenInByte = 320
; TotalNumSgprs: 22
; NumVgprs: 7
; ScratchSize: 0
; MemoryBound: 0
; FloatMode: 240
; IeeeMode: 1
; LDSByteSize: 0 bytes/workgroup (compile time only)
; SGPRBlocks: 0
; VGPRBlocks: 0
; NumSGPRsForWavesPerEU: 22
; NumVGPRsForWavesPerEU: 7
; NamedBarCnt: 0
; Occupancy: 16
; WaveLimiterHint : 1
; COMPUTE_PGM_RSRC2:SCRATCH_EN: 0
; COMPUTE_PGM_RSRC2:USER_SGPR: 2
; COMPUTE_PGM_RSRC2:TRAP_HANDLER: 0
; COMPUTE_PGM_RSRC2:TGID_X_EN: 1
; COMPUTE_PGM_RSRC2:TGID_Y_EN: 0
; COMPUTE_PGM_RSRC2:TGID_Z_EN: 1
; COMPUTE_PGM_RSRC2:TIDIG_COMP_CNT: 0
	.section	.text._ZL22rocblas_scopy_2_kernelILi256EPKPfS2_EviT0_llT1_lli,"axG",@progbits,_ZL22rocblas_scopy_2_kernelILi256EPKPfS2_EviT0_llT1_lli,comdat
	.globl	_ZL22rocblas_scopy_2_kernelILi256EPKPfS2_EviT0_llT1_lli ; -- Begin function _ZL22rocblas_scopy_2_kernelILi256EPKPfS2_EviT0_llT1_lli
	.p2align	8
	.type	_ZL22rocblas_scopy_2_kernelILi256EPKPfS2_EviT0_llT1_lli,@function
_ZL22rocblas_scopy_2_kernelILi256EPKPfS2_EviT0_llT1_lli: ; @_ZL22rocblas_scopy_2_kernelILi256EPKPfS2_EviT0_llT1_lli
; %bb.0:
	s_load_b32 s12, s[0:1], 0x38
	s_bfe_u32 s2, ttmp6, 0x40014
	s_lshr_b32 s3, ttmp7, 16
	s_add_co_i32 s2, s2, 1
	s_bfe_u32 s5, ttmp6, 0x40008
	s_mul_i32 s4, s3, s2
	s_getreg_b32 s2, hwreg(HW_REG_IB_STS2, 6, 4)
	s_add_co_i32 s5, s5, s4
	s_cmp_eq_u32 s2, 0
	s_cselect_b32 s13, s3, s5
	s_wait_kmcnt 0x0
	s_cmp_ge_u32 s13, s12
	s_cbranch_scc1 .LBB14_7
; %bb.1:
	s_clause 0x1
	s_load_b32 s14, s[0:1], 0x0
	s_load_b128 s[4:7], s[0:1], 0x8
	s_bfe_u32 s3, ttmp6, 0x4000c
	s_load_b128 s[8:11], s[0:1], 0x20
	s_add_co_i32 s3, s3, 1
	s_wait_xcnt 0x0
	s_and_b32 s0, ttmp6, 15
	s_mul_i32 s1, ttmp9, s3
	v_dual_mov_b32 v3, 0 :: v_dual_lshlrev_b32 v0, 1, v0
	s_add_co_i32 s0, s0, s1
	s_cmp_eq_u32 s2, 0
	s_cselect_b32 s0, ttmp9, s0
	s_delay_alu instid0(VALU_DEP_1) | instid1(SALU_CYCLE_1)
	v_lshl_or_b32 v2, s0, 9, v0
	s_delay_alu instid0(VALU_DEP_1) | instskip(SKIP_2) | instid1(SALU_CYCLE_1)
	v_lshlrev_b64_e32 v[0:1], 2, v[2:3]
	s_wait_kmcnt 0x0
	s_add_co_i32 s2, s14, -1
	s_ashr_i32 s3, s2, 31
	s_bitcmp1_b32 s14, 0
	v_cmp_eq_u64_e64 s0, s[2:3], v[2:3]
	s_cselect_b32 s1, -1, 0
	v_cmp_gt_i64_e32 vcc_lo, s[2:3], v[2:3]
	s_lshl_b64 s[2:3], s[6:7], 2
	s_and_b32 s6, s1, s0
	s_lshl_b64 s[0:1], s[10:11], 2
	s_branch .LBB14_3
.LBB14_2:                               ;   in Loop: Header=BB14_3 Depth=1
	s_wait_xcnt 0x0
	s_or_b32 exec_lo, exec_lo, s7
	s_add_co_i32 s13, s13, 0x10000
	s_delay_alu instid0(SALU_CYCLE_1)
	s_cmp_lt_u32 s13, s12
	s_cbranch_scc0 .LBB14_7
.LBB14_3:                               ; =>This Inner Loop Header: Depth=1
	s_load_b64 s[10:11], s[4:5], s13 offset:0x0 scale_offset
	s_load_b64 s[14:15], s[8:9], s13 offset:0x0 scale_offset
	s_wait_kmcnt 0x0
	s_add_nc_u64 s[10:11], s[10:11], s[2:3]
	s_add_nc_u64 s[14:15], s[14:15], s[0:1]
	v_add_nc_u64_e32 v[2:3], s[10:11], v[0:1]
	v_add_nc_u64_e32 v[4:5], s[14:15], v[0:1]
	s_and_saveexec_b32 s7, vcc_lo
	s_cbranch_execnz .LBB14_5
; %bb.4:                                ;   in Loop: Header=BB14_3 Depth=1
	s_or_b32 exec_lo, exec_lo, s7
	s_and_saveexec_b32 s7, s6
	s_cbranch_execz .LBB14_2
	s_branch .LBB14_6
.LBB14_5:                               ;   in Loop: Header=BB14_3 Depth=1
	flat_load_b32 v6, v[2:3]
	s_wait_loadcnt_dscnt 0x0
	flat_store_b32 v[4:5], v6
	flat_load_b32 v6, v[2:3] offset:4
	s_wait_loadcnt_dscnt 0x0
	flat_store_b32 v[4:5], v6 offset:4
	s_wait_xcnt 0x0
	s_or_b32 exec_lo, exec_lo, s7
	s_and_saveexec_b32 s7, s6
	s_cbranch_execz .LBB14_2
.LBB14_6:                               ;   in Loop: Header=BB14_3 Depth=1
	flat_load_b32 v2, v[2:3]
	s_wait_loadcnt_dscnt 0x0
	flat_store_b32 v[4:5], v2
	s_branch .LBB14_2
.LBB14_7:
	s_endpgm
	.section	.rodata,"a",@progbits
	.p2align	6, 0x0
	.amdhsa_kernel _ZL22rocblas_scopy_2_kernelILi256EPKPfS2_EviT0_llT1_lli
		.amdhsa_group_segment_fixed_size 0
		.amdhsa_private_segment_fixed_size 0
		.amdhsa_kernarg_size 60
		.amdhsa_user_sgpr_count 2
		.amdhsa_user_sgpr_dispatch_ptr 0
		.amdhsa_user_sgpr_queue_ptr 0
		.amdhsa_user_sgpr_kernarg_segment_ptr 1
		.amdhsa_user_sgpr_dispatch_id 0
		.amdhsa_user_sgpr_kernarg_preload_length 0
		.amdhsa_user_sgpr_kernarg_preload_offset 0
		.amdhsa_user_sgpr_private_segment_size 0
		.amdhsa_wavefront_size32 1
		.amdhsa_uses_dynamic_stack 0
		.amdhsa_enable_private_segment 0
		.amdhsa_system_sgpr_workgroup_id_x 1
		.amdhsa_system_sgpr_workgroup_id_y 0
		.amdhsa_system_sgpr_workgroup_id_z 1
		.amdhsa_system_sgpr_workgroup_info 0
		.amdhsa_system_vgpr_workitem_id 0
		.amdhsa_next_free_vgpr 7
		.amdhsa_next_free_sgpr 16
		.amdhsa_named_barrier_count 0
		.amdhsa_reserve_vcc 1
		.amdhsa_float_round_mode_32 0
		.amdhsa_float_round_mode_16_64 0
		.amdhsa_float_denorm_mode_32 3
		.amdhsa_float_denorm_mode_16_64 3
		.amdhsa_fp16_overflow 0
		.amdhsa_memory_ordered 1
		.amdhsa_forward_progress 1
		.amdhsa_inst_pref_size 4
		.amdhsa_round_robin_scheduling 0
		.amdhsa_exception_fp_ieee_invalid_op 0
		.amdhsa_exception_fp_denorm_src 0
		.amdhsa_exception_fp_ieee_div_zero 0
		.amdhsa_exception_fp_ieee_overflow 0
		.amdhsa_exception_fp_ieee_underflow 0
		.amdhsa_exception_fp_ieee_inexact 0
		.amdhsa_exception_int_div_zero 0
	.end_amdhsa_kernel
	.section	.text._ZL22rocblas_scopy_2_kernelILi256EPKPfS2_EviT0_llT1_lli,"axG",@progbits,_ZL22rocblas_scopy_2_kernelILi256EPKPfS2_EviT0_llT1_lli,comdat
.Lfunc_end14:
	.size	_ZL22rocblas_scopy_2_kernelILi256EPKPfS2_EviT0_llT1_lli, .Lfunc_end14-_ZL22rocblas_scopy_2_kernelILi256EPKPfS2_EviT0_llT1_lli
                                        ; -- End function
	.set _ZL22rocblas_scopy_2_kernelILi256EPKPfS2_EviT0_llT1_lli.num_vgpr, 7
	.set _ZL22rocblas_scopy_2_kernelILi256EPKPfS2_EviT0_llT1_lli.num_agpr, 0
	.set _ZL22rocblas_scopy_2_kernelILi256EPKPfS2_EviT0_llT1_lli.numbered_sgpr, 16
	.set _ZL22rocblas_scopy_2_kernelILi256EPKPfS2_EviT0_llT1_lli.num_named_barrier, 0
	.set _ZL22rocblas_scopy_2_kernelILi256EPKPfS2_EviT0_llT1_lli.private_seg_size, 0
	.set _ZL22rocblas_scopy_2_kernelILi256EPKPfS2_EviT0_llT1_lli.uses_vcc, 1
	.set _ZL22rocblas_scopy_2_kernelILi256EPKPfS2_EviT0_llT1_lli.uses_flat_scratch, 0
	.set _ZL22rocblas_scopy_2_kernelILi256EPKPfS2_EviT0_llT1_lli.has_dyn_sized_stack, 0
	.set _ZL22rocblas_scopy_2_kernelILi256EPKPfS2_EviT0_llT1_lli.has_recursion, 0
	.set _ZL22rocblas_scopy_2_kernelILi256EPKPfS2_EviT0_llT1_lli.has_indirect_call, 0
	.section	.AMDGPU.csdata,"",@progbits
; Kernel info:
; codeLenInByte = 400
; TotalNumSgprs: 18
; NumVgprs: 7
; ScratchSize: 0
; MemoryBound: 0
; FloatMode: 240
; IeeeMode: 1
; LDSByteSize: 0 bytes/workgroup (compile time only)
; SGPRBlocks: 0
; VGPRBlocks: 0
; NumSGPRsForWavesPerEU: 18
; NumVGPRsForWavesPerEU: 7
; NamedBarCnt: 0
; Occupancy: 16
; WaveLimiterHint : 1
; COMPUTE_PGM_RSRC2:SCRATCH_EN: 0
; COMPUTE_PGM_RSRC2:USER_SGPR: 2
; COMPUTE_PGM_RSRC2:TRAP_HANDLER: 0
; COMPUTE_PGM_RSRC2:TGID_X_EN: 1
; COMPUTE_PGM_RSRC2:TGID_Y_EN: 0
; COMPUTE_PGM_RSRC2:TGID_Z_EN: 1
; COMPUTE_PGM_RSRC2:TIDIG_COMP_CNT: 0
	.section	.text._ZL19rocblas_copy_kernelIiLi256EPKPfS2_EviT1_lT_lT2_lS4_li,"axG",@progbits,_ZL19rocblas_copy_kernelIiLi256EPKPfS2_EviT1_lT_lT2_lS4_li,comdat
	.globl	_ZL19rocblas_copy_kernelIiLi256EPKPfS2_EviT1_lT_lT2_lS4_li ; -- Begin function _ZL19rocblas_copy_kernelIiLi256EPKPfS2_EviT1_lT_lT2_lS4_li
	.p2align	8
	.type	_ZL19rocblas_copy_kernelIiLi256EPKPfS2_EviT1_lT_lT2_lS4_li,@function
_ZL19rocblas_copy_kernelIiLi256EPKPfS2_EviT1_lT_lT2_lS4_li: ; @_ZL19rocblas_copy_kernelIiLi256EPKPfS2_EviT1_lT_lT2_lS4_li
; %bb.0:
	s_load_b32 s12, s[0:1], 0x48
	s_bfe_u32 s2, ttmp6, 0x40014
	s_lshr_b32 s3, ttmp7, 16
	s_add_co_i32 s2, s2, 1
	s_bfe_u32 s5, ttmp6, 0x40008
	s_mul_i32 s4, s3, s2
	s_getreg_b32 s2, hwreg(HW_REG_IB_STS2, 6, 4)
	s_add_co_i32 s5, s5, s4
	s_cmp_eq_u32 s2, 0
	s_cselect_b32 s13, s3, s5
	s_wait_kmcnt 0x0
	s_cmp_ge_u32 s13, s12
	s_cbranch_scc1 .LBB15_5
; %bb.1:
	s_clause 0x2
	s_load_b32 s14, s[0:1], 0x0
	s_load_b32 s8, s[0:1], 0x18
	;; [unrolled: 1-line block ×3, first 2 shown]
	s_bfe_u32 s3, ttmp6, 0x4000c
	s_and_b32 s9, ttmp6, 15
	s_add_co_i32 s3, s3, 1
	v_mov_b32_e32 v5, 0
	s_mul_i32 s3, ttmp9, s3
	s_load_b128 s[4:7], s[0:1], 0x8
	s_add_co_i32 s3, s9, s3
	s_wait_kmcnt 0x0
	s_ashr_i32 s15, s14, 31
	s_ashr_i32 s9, s8, 31
	;; [unrolled: 1-line block ×3, first 2 shown]
	s_cmp_eq_u32 s2, 0
	s_cselect_b32 s2, ttmp9, s3
	s_delay_alu instid0(SALU_CYCLE_1) | instskip(NEXT) | instid1(VALU_DEP_1)
	v_lshl_or_b32 v4, s2, 8, v0
	v_mul_u64_e32 v[0:1], s[8:9], v[4:5]
	v_mul_u64_e32 v[2:3], s[10:11], v[4:5]
	s_load_b128 s[8:11], s[0:1], 0x28
	s_lshl_b64 s[2:3], s[6:7], 2
	v_cmp_gt_i64_e32 vcc_lo, s[14:15], v[4:5]
	s_wait_kmcnt 0x0
	s_lshl_b64 s[0:1], s[10:11], 2
	s_branch .LBB15_3
.LBB15_2:                               ;   in Loop: Header=BB15_3 Depth=1
	s_wait_xcnt 0x0
	s_or_b32 exec_lo, exec_lo, s6
	s_add_co_i32 s13, s13, 0x10000
	s_delay_alu instid0(SALU_CYCLE_1)
	s_cmp_lt_u32 s13, s12
	s_cbranch_scc0 .LBB15_5
.LBB15_3:                               ; =>This Inner Loop Header: Depth=1
	s_and_saveexec_b32 s6, vcc_lo
	s_cbranch_execz .LBB15_2
; %bb.4:                                ;   in Loop: Header=BB15_3 Depth=1
	s_load_b64 s[10:11], s[4:5], s13 offset:0x0 scale_offset
	s_wait_kmcnt 0x0
	s_add_nc_u64 s[10:11], s[10:11], s[2:3]
	s_delay_alu instid0(VALU_DEP_3) | instid1(SALU_CYCLE_1)
	v_lshl_add_u64 v[4:5], v[0:1], 2, s[10:11]
	s_load_b64 s[10:11], s[8:9], s13 offset:0x0 scale_offset
	flat_load_b32 v6, v[4:5]
	s_wait_kmcnt 0x0
	s_add_nc_u64 s[10:11], s[10:11], s[0:1]
	s_wait_xcnt 0x0
	v_lshl_add_u64 v[4:5], v[2:3], 2, s[10:11]
	s_wait_loadcnt_dscnt 0x0
	flat_store_b32 v[4:5], v6
	s_branch .LBB15_2
.LBB15_5:
	s_endpgm
	.section	.rodata,"a",@progbits
	.p2align	6, 0x0
	.amdhsa_kernel _ZL19rocblas_copy_kernelIiLi256EPKPfS2_EviT1_lT_lT2_lS4_li
		.amdhsa_group_segment_fixed_size 0
		.amdhsa_private_segment_fixed_size 0
		.amdhsa_kernarg_size 76
		.amdhsa_user_sgpr_count 2
		.amdhsa_user_sgpr_dispatch_ptr 0
		.amdhsa_user_sgpr_queue_ptr 0
		.amdhsa_user_sgpr_kernarg_segment_ptr 1
		.amdhsa_user_sgpr_dispatch_id 0
		.amdhsa_user_sgpr_kernarg_preload_length 0
		.amdhsa_user_sgpr_kernarg_preload_offset 0
		.amdhsa_user_sgpr_private_segment_size 0
		.amdhsa_wavefront_size32 1
		.amdhsa_uses_dynamic_stack 0
		.amdhsa_enable_private_segment 0
		.amdhsa_system_sgpr_workgroup_id_x 1
		.amdhsa_system_sgpr_workgroup_id_y 0
		.amdhsa_system_sgpr_workgroup_id_z 1
		.amdhsa_system_sgpr_workgroup_info 0
		.amdhsa_system_vgpr_workitem_id 0
		.amdhsa_next_free_vgpr 7
		.amdhsa_next_free_sgpr 16
		.amdhsa_named_barrier_count 0
		.amdhsa_reserve_vcc 1
		.amdhsa_float_round_mode_32 0
		.amdhsa_float_round_mode_16_64 0
		.amdhsa_float_denorm_mode_32 3
		.amdhsa_float_denorm_mode_16_64 3
		.amdhsa_fp16_overflow 0
		.amdhsa_memory_ordered 1
		.amdhsa_forward_progress 1
		.amdhsa_inst_pref_size 3
		.amdhsa_round_robin_scheduling 0
		.amdhsa_exception_fp_ieee_invalid_op 0
		.amdhsa_exception_fp_denorm_src 0
		.amdhsa_exception_fp_ieee_div_zero 0
		.amdhsa_exception_fp_ieee_overflow 0
		.amdhsa_exception_fp_ieee_underflow 0
		.amdhsa_exception_fp_ieee_inexact 0
		.amdhsa_exception_int_div_zero 0
	.end_amdhsa_kernel
	.section	.text._ZL19rocblas_copy_kernelIiLi256EPKPfS2_EviT1_lT_lT2_lS4_li,"axG",@progbits,_ZL19rocblas_copy_kernelIiLi256EPKPfS2_EviT1_lT_lT2_lS4_li,comdat
.Lfunc_end15:
	.size	_ZL19rocblas_copy_kernelIiLi256EPKPfS2_EviT1_lT_lT2_lS4_li, .Lfunc_end15-_ZL19rocblas_copy_kernelIiLi256EPKPfS2_EviT1_lT_lT2_lS4_li
                                        ; -- End function
	.set _ZL19rocblas_copy_kernelIiLi256EPKPfS2_EviT1_lT_lT2_lS4_li.num_vgpr, 7
	.set _ZL19rocblas_copy_kernelIiLi256EPKPfS2_EviT1_lT_lT2_lS4_li.num_agpr, 0
	.set _ZL19rocblas_copy_kernelIiLi256EPKPfS2_EviT1_lT_lT2_lS4_li.numbered_sgpr, 16
	.set _ZL19rocblas_copy_kernelIiLi256EPKPfS2_EviT1_lT_lT2_lS4_li.num_named_barrier, 0
	.set _ZL19rocblas_copy_kernelIiLi256EPKPfS2_EviT1_lT_lT2_lS4_li.private_seg_size, 0
	.set _ZL19rocblas_copy_kernelIiLi256EPKPfS2_EviT1_lT_lT2_lS4_li.uses_vcc, 1
	.set _ZL19rocblas_copy_kernelIiLi256EPKPfS2_EviT1_lT_lT2_lS4_li.uses_flat_scratch, 0
	.set _ZL19rocblas_copy_kernelIiLi256EPKPfS2_EviT1_lT_lT2_lS4_li.has_dyn_sized_stack, 0
	.set _ZL19rocblas_copy_kernelIiLi256EPKPfS2_EviT1_lT_lT2_lS4_li.has_recursion, 0
	.set _ZL19rocblas_copy_kernelIiLi256EPKPfS2_EviT1_lT_lT2_lS4_li.has_indirect_call, 0
	.section	.AMDGPU.csdata,"",@progbits
; Kernel info:
; codeLenInByte = 328
; TotalNumSgprs: 18
; NumVgprs: 7
; ScratchSize: 0
; MemoryBound: 0
; FloatMode: 240
; IeeeMode: 1
; LDSByteSize: 0 bytes/workgroup (compile time only)
; SGPRBlocks: 0
; VGPRBlocks: 0
; NumSGPRsForWavesPerEU: 18
; NumVGPRsForWavesPerEU: 7
; NamedBarCnt: 0
; Occupancy: 16
; WaveLimiterHint : 1
; COMPUTE_PGM_RSRC2:SCRATCH_EN: 0
; COMPUTE_PGM_RSRC2:USER_SGPR: 2
; COMPUTE_PGM_RSRC2:TRAP_HANDLER: 0
; COMPUTE_PGM_RSRC2:TGID_X_EN: 1
; COMPUTE_PGM_RSRC2:TGID_Y_EN: 0
; COMPUTE_PGM_RSRC2:TGID_Z_EN: 1
; COMPUTE_PGM_RSRC2:TIDIG_COMP_CNT: 0
	.section	.text._ZL20rocblas_tbmvx_kernelILi64ELi16EPKPKfPKPfEv18rocblas_operation_bbiiT1_lllS8_T2_llli,"axG",@progbits,_ZL20rocblas_tbmvx_kernelILi64ELi16EPKPKfPKPfEv18rocblas_operation_bbiiT1_lllS8_T2_llli,comdat
	.globl	_ZL20rocblas_tbmvx_kernelILi64ELi16EPKPKfPKPfEv18rocblas_operation_bbiiT1_lllS8_T2_llli ; -- Begin function _ZL20rocblas_tbmvx_kernelILi64ELi16EPKPKfPKPfEv18rocblas_operation_bbiiT1_lllS8_T2_llli
	.p2align	8
	.type	_ZL20rocblas_tbmvx_kernelILi64ELi16EPKPKfPKPfEv18rocblas_operation_bbiiT1_lllS8_T2_llli,@function
_ZL20rocblas_tbmvx_kernelILi64ELi16EPKPKfPKPfEv18rocblas_operation_bbiiT1_lllS8_T2_llli: ; @_ZL20rocblas_tbmvx_kernelILi64ELi16EPKPKfPKPfEv18rocblas_operation_bbiiT1_lllS8_T2_llli
; %bb.0:
	s_clause 0x1
	s_load_b64 s[4:5], s[0:1], 0x6c
	s_load_b32 s3, s[0:1], 0x58
	s_bfe_u32 s2, ttmp6, 0x40014
	s_lshr_b32 s6, ttmp7, 16
	s_add_co_i32 s2, s2, 1
	s_bfe_u32 s7, ttmp6, 0x40008
	s_mul_i32 s8, s6, s2
	s_getreg_b32 s2, hwreg(HW_REG_IB_STS2, 6, 4)
	s_add_co_i32 s7, s7, s8
	s_wait_kmcnt 0x0
	s_lshr_b32 s8, s4, 16
	s_and_b32 s4, s4, 0xffff
	s_and_b32 s5, s5, 0xffff
	s_mul_i32 s8, s8, s4
	s_cmp_eq_u32 s2, 0
	s_mul_i32 s8, s8, s5
	s_cselect_b32 s19, s6, s7
	s_cmp_lg_u32 s8, 0x400
	s_cselect_b32 s5, -1, 0
	s_cmp_ge_u32 s19, s3
	s_cselect_b32 s6, -1, 0
	s_delay_alu instid0(SALU_CYCLE_1) | instskip(NEXT) | instid1(SALU_CYCLE_1)
	s_or_b32 s5, s5, s6
	s_and_b32 vcc_lo, exec_lo, s5
	s_cbranch_vccnz .LBB16_62
; %bb.1:
	s_clause 0x1
	s_load_b64 s[22:23], s[0:1], 0x0
	s_load_b96 s[16:18], s[0:1], 0x4
	v_and_b32_e32 v1, 0x3ff, v0
	v_bfe_u32 v0, v0, 10, 10
	s_clause 0x1
	s_load_b64 s[20:21], s[0:1], 0x20
	s_load_b128 s[12:15], s[0:1], 0x10
	v_mov_b32_e32 v3, 0
	v_mad_u32_u24 v2, v0, s4, v1
	s_delay_alu instid0(VALU_DEP_2) | instskip(NEXT) | instid1(VALU_DEP_2)
	v_dual_mov_b32 v7, v3 :: v_dual_mov_b32 v9, v3
	v_dual_lshrrev_b32 v6, 6, v2 :: v_dual_bitop2_b32 v14, 63, v2 bitop3:0x40
	v_lshlrev_b32_e32 v15, 2, v2
	v_cmp_gt_u32_e32 vcc_lo, 64, v2
	s_wait_kmcnt 0x0
	s_bitcmp1_b32 s23, 0
	s_mov_b32 s30, s18
	s_cselect_b32 s23, -1, 0
	s_delay_alu instid0(SALU_CYCLE_1)
	s_and_b32 s5, s23, exec_lo
	s_cselect_b32 s25, s18, 0
	s_xor_b32 s24, s23, -1
	s_bitcmp1_b32 s16, 8
	v_mul_u64_e32 v[16:17], s[20:21], v[6:7]
	s_cselect_b32 s26, -1, 0
	s_bfe_u32 s5, ttmp6, 0x4000c
	s_and_b32 s4, ttmp6, 15
	s_add_co_i32 s5, s5, 1
	s_delay_alu instid0(SALU_CYCLE_1) | instskip(NEXT) | instid1(SALU_CYCLE_1)
	s_mul_i32 s5, ttmp9, s5
	s_add_co_i32 s4, s4, s5
	s_cmp_eq_u32 s2, 0
	s_cselect_b32 s2, ttmp9, s4
	s_load_b256 s[4:11], s[0:1], 0x30
	s_lshl_b32 s16, s2, 6
	s_wait_xcnt 0x0
	v_cmp_gt_i64_e64 s1, s[20:21], v[6:7]
	v_or_b32_e32 v0, s16, v14
	v_add_nc_u32_e32 v12, s16, v2
	v_cmp_ge_i32_e64 s2, s18, v6
	s_cmp_lg_u32 s22, 0x6f
	v_dual_lshlrev_b32 v8, 2, v6 :: v_dual_sub_nc_u32 v33, s18, v0
	v_ashrrev_i32_e32 v1, 31, v0
	v_ashrrev_i32_e32 v13, 31, v12
	v_add3_u32 v2, s25, s16, v14
	s_cselect_b32 s16, -1, 0
	v_cmp_gt_i32_e64 s0, s17, v6
	v_mul_u64_e32 v[4:5], s[20:21], v[0:1]
	v_xad_u32 v32, v0, -1, s17
	v_subrev_nc_u32_e32 v14, s18, v0
	v_sub_nc_u32_e32 v34, v2, v6
	s_and_b32 s25, s2, s1
	s_and_b32 s1, s23, s26
	s_wait_kmcnt 0x0
	v_mul_u64_e32 v[10:11], s[10:11], v[12:13]
	s_xor_b32 s26, s26, -1
	s_xor_b32 s27, s1, -1
	s_cmp_lg_u32 s18, 0
	v_cmp_gt_i32_e64 s2, s17, v12
	s_cselect_b32 s22, -1, 0
	s_lshl_b64 s[10:11], s[14:15], 2
	v_cmp_gt_i32_e64 s1, s17, v0
	s_and_b32 s14, s23, s22
	s_ashr_i32 s31, s18, 31
	s_nor_b32 s28, s14, s26
	s_and_b32 s29, vcc_lo, s2
	s_lshl_b64 s[14:15], s[20:21], 6
	s_lshl_b64 s[22:23], s[30:31], 2
	;; [unrolled: 1-line block ×3, first 2 shown]
	v_lshl_add_u64 v[16:17], v[16:17], 2, s[10:11]
	v_lshl_add_u64 v[12:13], v[4:5], 2, s[10:11]
	s_delay_alu instid0(VALU_DEP_1)
	v_add_nc_u64_e32 v[12:13], v[12:13], v[8:9]
	s_branch .LBB16_3
.LBB16_2:                               ;   in Loop: Header=BB16_3 Depth=1
	s_wait_xcnt 0x0
	s_or_b32 exec_lo, exec_lo, s2
	s_add_co_i32 s19, s19, 0x10000
	s_delay_alu instid0(SALU_CYCLE_1)
	s_cmp_lt_u32 s19, s3
	s_cbranch_scc0 .LBB16_62
.LBB16_3:                               ; =>This Loop Header: Depth=1
                                        ;     Child Loop BB16_11 Depth 2
                                        ;     Child Loop BB16_39 Depth 2
	v_mov_b32_e32 v2, s19
	s_and_b32 vcc_lo, exec_lo, s16
	s_mov_b32 s2, -1
                                        ; implicit-def: $vgpr35
	s_clause 0x2
	global_load_b64 v[20:21], v2, s[12:13] scale_offset
	global_load_b64 v[22:23], v2, s[4:5] scale_offset
	;; [unrolled: 1-line block ×3, first 2 shown]
	s_cbranch_vccz .LBB16_34
; %bb.4:                                ;   in Loop: Header=BB16_3 Depth=1
	v_mov_b32_e32 v35, 0
	s_wait_xcnt 0x0
	s_and_saveexec_b32 s30, s25
	s_cbranch_execz .LBB16_33
; %bb.5:                                ;   in Loop: Header=BB16_3 Depth=1
	s_wait_loadcnt 0x2
	v_add_nc_u64_e32 v[28:29], s[10:11], v[20:21]
	v_add_nc_u64_e32 v[26:27], v[20:21], v[12:13]
	v_mov_b64_e32 v[30:31], v[6:7]
	s_wait_loadcnt 0x1
	v_lshl_add_u64 v[24:25], v[0:1], 2, v[22:23]
	v_mov_b32_e32 v35, 0
	s_mov_b32 s31, 0
	v_lshl_add_u64 v[28:29], v[4:5], 2, v[28:29]
	s_branch .LBB16_11
.LBB16_6:                               ;   in Loop: Header=BB16_11 Depth=2
	s_delay_alu instid0(VALU_DEP_1)
	v_mov_b32_e32 v35, v2
.LBB16_7:                               ;   in Loop: Header=BB16_11 Depth=2
	s_wait_xcnt 0x0
	s_or_b32 exec_lo, exec_lo, s34
.LBB16_8:                               ;   in Loop: Header=BB16_11 Depth=2
	s_delay_alu instid0(SALU_CYCLE_1) | instskip(NEXT) | instid1(VALU_DEP_1)
	s_or_b32 exec_lo, exec_lo, s2
	v_mov_b32_e32 v2, v35
.LBB16_9:                               ;   in Loop: Header=BB16_11 Depth=2
	s_delay_alu instid0(VALU_DEP_1)
	v_mov_b32_e32 v35, v2
.LBB16_10:                              ;   in Loop: Header=BB16_11 Depth=2
	s_or_b32 exec_lo, exec_lo, s33
	v_add_nc_u64_e32 v[30:31], 16, v[30:31]
	v_add_nc_u64_e32 v[26:27], 64, v[26:27]
	s_delay_alu instid0(VALU_DEP_2) | instskip(SKIP_1) | instid1(VALU_DEP_2)
	v_mov_b32_e32 v2, v30
	v_cmp_lt_i32_e64 s2, s18, v30
	v_cmp_le_u64_e32 vcc_lo, s[20:21], v[2:3]
	s_or_b32 s2, s2, vcc_lo
	s_delay_alu instid0(SALU_CYCLE_1) | instskip(NEXT) | instid1(SALU_CYCLE_1)
	s_and_b32 s2, exec_lo, s2
	s_or_b32 s31, s2, s31
	s_delay_alu instid0(SALU_CYCLE_1)
	s_and_not1_b32 exec_lo, exec_lo, s31
	s_cbranch_execz .LBB16_32
.LBB16_11:                              ;   Parent Loop BB16_3 Depth=1
                                        ; =>  This Inner Loop Header: Depth=2
	s_and_saveexec_b32 s33, s1
	s_cbranch_execz .LBB16_10
; %bb.12:                               ;   in Loop: Header=BB16_11 Depth=2
	s_and_b32 vcc_lo, exec_lo, s24
	s_mov_b32 s2, -1
                                        ; implicit-def: $vgpr2
	s_cbranch_vccz .LBB16_23
; %bb.13:                               ;   in Loop: Header=BB16_11 Depth=2
	v_cmp_eq_u64_e32 vcc_lo, 0, v[30:31]
	v_cmp_lt_i32_e64 s2, v32, v30
                                        ; implicit-def: $vgpr2
	s_or_b32 s2, vcc_lo, s2
	s_delay_alu instid0(SALU_CYCLE_1) | instskip(NEXT) | instid1(SALU_CYCLE_1)
	s_and_saveexec_b32 s34, s2
	s_xor_b32 s2, exec_lo, s34
	s_cbranch_execz .LBB16_20
; %bb.14:                               ;   in Loop: Header=BB16_11 Depth=2
	v_mov_b32_e32 v2, v35
	s_mov_b32 s34, exec_lo
	v_cmpx_eq_u64_e32 0, v[30:31]
	s_cbranch_execz .LBB16_19
; %bb.15:                               ;   in Loop: Header=BB16_11 Depth=2
	s_and_b32 vcc_lo, exec_lo, s26
	s_mov_b32 s35, -1
                                        ; implicit-def: $vgpr2
	s_cbranch_vccz .LBB16_17
; %bb.16:                               ;   in Loop: Header=BB16_11 Depth=2
	flat_load_b32 v2, v[28:29]
	flat_load_b32 v36, v[24:25]
	s_mov_b32 s35, 0
	s_wait_loadcnt_dscnt 0x0
	v_fma_f32 v2, v2, v36, v35
.LBB16_17:                              ;   in Loop: Header=BB16_11 Depth=2
	s_and_not1_b32 vcc_lo, exec_lo, s35
	s_cbranch_vccnz .LBB16_19
; %bb.18:                               ;   in Loop: Header=BB16_11 Depth=2
	flat_load_b32 v2, v[24:25]
	s_wait_loadcnt_dscnt 0x0
	v_add_f32_e32 v2, v35, v2
.LBB16_19:                              ;   in Loop: Header=BB16_11 Depth=2
	s_wait_xcnt 0x0
	s_or_b32 exec_lo, exec_lo, s34
.LBB16_20:                              ;   in Loop: Header=BB16_11 Depth=2
	s_and_not1_saveexec_b32 s2, s2
	s_cbranch_execz .LBB16_22
; %bb.21:                               ;   in Loop: Header=BB16_11 Depth=2
	v_add_nc_u32_e32 v2, v0, v30
	v_readfirstlane_b32 s34, v22
	v_readfirstlane_b32 s35, v23
	flat_load_b32 v36, v[26:27]
	flat_load_b32 v37, v2, s[34:35] scale_offset
	s_wait_loadcnt_dscnt 0x0
	s_wait_xcnt 0x0
	v_fma_f32 v2, v36, v37, v35
.LBB16_22:                              ;   in Loop: Header=BB16_11 Depth=2
	s_or_b32 exec_lo, exec_lo, s2
	s_mov_b32 s2, 0
.LBB16_23:                              ;   in Loop: Header=BB16_11 Depth=2
	s_delay_alu instid0(SALU_CYCLE_1)
	s_and_not1_b32 vcc_lo, exec_lo, s2
	s_cbranch_vccnz .LBB16_9
; %bb.24:                               ;   in Loop: Header=BB16_11 Depth=2
	v_cmp_gt_i32_e32 vcc_lo, s18, v30
	v_cmp_le_i32_e64 s2, v33, v30
	s_and_b32 s2, vcc_lo, s2
	s_delay_alu instid0(SALU_CYCLE_1) | instskip(NEXT) | instid1(SALU_CYCLE_1)
	s_and_saveexec_b32 s34, s2
	s_xor_b32 s2, exec_lo, s34
	s_cbranch_execz .LBB16_26
; %bb.25:                               ;   in Loop: Header=BB16_11 Depth=2
	v_add_nc_u32_e32 v2, v14, v30
	v_readfirstlane_b32 s34, v22
	v_readfirstlane_b32 s35, v23
	flat_load_b32 v36, v[26:27]
	flat_load_b32 v37, v2, s[34:35] scale_offset
	s_wait_loadcnt_dscnt 0x0
	v_fmac_f32_e32 v35, v36, v37
.LBB16_26:                              ;   in Loop: Header=BB16_11 Depth=2
	s_wait_xcnt 0x0
	s_and_not1_saveexec_b32 s2, s2
	s_cbranch_execz .LBB16_8
; %bb.27:                               ;   in Loop: Header=BB16_11 Depth=2
	s_mov_b32 s34, exec_lo
	v_cmpx_eq_u32_e64 s18, v30
	s_cbranch_execz .LBB16_7
; %bb.28:                               ;   in Loop: Header=BB16_11 Depth=2
	s_and_b32 vcc_lo, exec_lo, s26
	s_mov_b32 s35, -1
                                        ; implicit-def: $vgpr2
	s_cbranch_vccz .LBB16_30
; %bb.29:                               ;   in Loop: Header=BB16_11 Depth=2
	flat_load_b32 v2, v[26:27]
	flat_load_b32 v36, v[24:25]
	s_mov_b32 s35, 0
	s_wait_loadcnt_dscnt 0x0
	v_fma_f32 v2, v2, v36, v35
.LBB16_30:                              ;   in Loop: Header=BB16_11 Depth=2
	s_and_not1_b32 vcc_lo, exec_lo, s35
	s_cbranch_vccnz .LBB16_6
; %bb.31:                               ;   in Loop: Header=BB16_11 Depth=2
	flat_load_b32 v2, v[24:25]
	s_wait_loadcnt_dscnt 0x0
	v_add_f32_e32 v2, v35, v2
	s_branch .LBB16_6
.LBB16_32:                              ;   in Loop: Header=BB16_3 Depth=1
	s_or_b32 exec_lo, exec_lo, s31
.LBB16_33:                              ;   in Loop: Header=BB16_3 Depth=1
	s_delay_alu instid0(SALU_CYCLE_1)
	s_or_b32 exec_lo, exec_lo, s30
	s_mov_b32 s2, 0
.LBB16_34:                              ;   in Loop: Header=BB16_3 Depth=1
	s_delay_alu instid0(SALU_CYCLE_1)
	s_and_not1_b32 vcc_lo, exec_lo, s2
	s_cbranch_vccnz .LBB16_60
; %bb.35:                               ;   in Loop: Header=BB16_3 Depth=1
	v_mov_b32_e32 v35, 0
	s_wait_xcnt 0x0
	s_and_saveexec_b32 s30, s0
	s_cbranch_execz .LBB16_59
; %bb.36:                               ;   in Loop: Header=BB16_3 Depth=1
	s_wait_loadcnt 0x1
	v_add_nc_u64_e32 v[22:23], v[22:23], v[8:9]
	v_add_nc_u64_e32 v[20:21], v[20:21], v[16:17]
	v_dual_mov_b32 v35, 0 :: v_dual_mov_b32 v2, v34
	v_mov_b32_e32 v24, v6
	s_mov_b32 s31, 0
	s_branch .LBB16_39
.LBB16_37:                              ;   in Loop: Header=BB16_39 Depth=2
	s_wait_xcnt 0x0
	s_or_b32 exec_lo, exec_lo, s2
.LBB16_38:                              ;   in Loop: Header=BB16_39 Depth=2
	s_delay_alu instid0(SALU_CYCLE_1) | instskip(SKIP_3) | instid1(VALU_DEP_3)
	s_or_b32 exec_lo, exec_lo, s33
	v_dual_add_nc_u32 v24, 16, v24 :: v_dual_add_nc_u32 v2, -16, v2
	v_add_nc_u64_e32 v[22:23], 64, v[22:23]
	v_add_nc_u64_e32 v[20:21], s[14:15], v[20:21]
	v_cmp_le_i32_e32 vcc_lo, s17, v24
	s_or_b32 s31, vcc_lo, s31
	s_delay_alu instid0(SALU_CYCLE_1)
	s_and_not1_b32 exec_lo, exec_lo, s31
	s_cbranch_execz .LBB16_58
.LBB16_39:                              ;   Parent Loop BB16_3 Depth=1
                                        ; =>  This Inner Loop Header: Depth=2
	s_and_saveexec_b32 s33, s1
	s_cbranch_execz .LBB16_38
; %bb.40:                               ;   in Loop: Header=BB16_39 Depth=2
	v_cmp_le_i32_e32 vcc_lo, s18, v2
	v_cmp_gt_i32_e64 s2, 1, v2
	s_or_b32 s2, vcc_lo, s2
	s_delay_alu instid0(SALU_CYCLE_1) | instskip(NEXT) | instid1(SALU_CYCLE_1)
	s_and_saveexec_b32 s34, s2
	s_xor_b32 s2, exec_lo, s34
	s_cbranch_execz .LBB16_56
; %bb.41:                               ;   in Loop: Header=BB16_39 Depth=2
	s_mov_b32 s34, exec_lo
	v_cmpx_ne_u32_e32 0, v2
	s_xor_b32 s34, exec_lo, s34
	s_cbranch_execz .LBB16_49
; %bb.42:                               ;   in Loop: Header=BB16_39 Depth=2
	s_mov_b32 s35, exec_lo
	v_cmpx_eq_u32_e64 s18, v2
	s_cbranch_execz .LBB16_48
; %bb.43:                               ;   in Loop: Header=BB16_39 Depth=2
	s_and_b32 vcc_lo, exec_lo, s27
	s_mov_b32 s36, -1
                                        ; implicit-def: $vgpr25
	s_cbranch_vccz .LBB16_45
; %bb.44:                               ;   in Loop: Header=BB16_39 Depth=2
	v_add_nc_u64_e32 v[26:27], s[22:23], v[20:21]
	s_mov_b32 s36, 0
	flat_load_b32 v25, v[26:27]
	flat_load_b32 v28, v[22:23]
	s_wait_loadcnt_dscnt 0x0
	v_fma_f32 v25, v25, v28, v35
.LBB16_45:                              ;   in Loop: Header=BB16_39 Depth=2
	s_and_not1_b32 vcc_lo, exec_lo, s36
	s_cbranch_vccnz .LBB16_47
; %bb.46:                               ;   in Loop: Header=BB16_39 Depth=2
	flat_load_b32 v25, v[22:23]
	s_wait_loadcnt_dscnt 0x0
	v_add_f32_e32 v25, v35, v25
.LBB16_47:                              ;   in Loop: Header=BB16_39 Depth=2
	s_delay_alu instid0(VALU_DEP_1)
	v_mov_b32_e32 v35, v25
.LBB16_48:                              ;   in Loop: Header=BB16_39 Depth=2
	s_wait_xcnt 0x0
	s_or_b32 exec_lo, exec_lo, s35
.LBB16_49:                              ;   in Loop: Header=BB16_39 Depth=2
	s_and_not1_saveexec_b32 s34, s34
	s_cbranch_execz .LBB16_55
; %bb.50:                               ;   in Loop: Header=BB16_39 Depth=2
	s_and_not1_b32 vcc_lo, exec_lo, s28
	s_mov_b32 s35, -1
                                        ; implicit-def: $vgpr25
	s_cbranch_vccnz .LBB16_52
; %bb.51:                               ;   in Loop: Header=BB16_39 Depth=2
	flat_load_b32 v25, v[22:23]
	s_mov_b32 s35, 0
	s_wait_loadcnt_dscnt 0x0
	v_add_f32_e32 v25, v35, v25
.LBB16_52:                              ;   in Loop: Header=BB16_39 Depth=2
	s_and_not1_b32 vcc_lo, exec_lo, s35
	s_cbranch_vccnz .LBB16_54
; %bb.53:                               ;   in Loop: Header=BB16_39 Depth=2
	flat_load_b32 v25, v[20:21]
	flat_load_b32 v26, v[22:23]
	s_wait_loadcnt_dscnt 0x0
	v_fmac_f32_e32 v35, v25, v26
	s_delay_alu instid0(VALU_DEP_1)
	v_mov_b32_e32 v25, v35
.LBB16_54:                              ;   in Loop: Header=BB16_39 Depth=2
	s_delay_alu instid0(VALU_DEP_1)
	v_mov_b32_e32 v35, v25
.LBB16_55:                              ;   in Loop: Header=BB16_39 Depth=2
	s_wait_xcnt 0x0
	s_or_b32 exec_lo, exec_lo, s34
.LBB16_56:                              ;   in Loop: Header=BB16_39 Depth=2
	s_and_not1_saveexec_b32 s2, s2
	s_cbranch_execz .LBB16_37
; %bb.57:                               ;   in Loop: Header=BB16_39 Depth=2
	v_lshl_add_u64 v[26:27], v[2:3], 2, v[20:21]
	flat_load_b32 v25, v[26:27]
	flat_load_b32 v28, v[22:23]
	s_wait_loadcnt_dscnt 0x0
	v_fmac_f32_e32 v35, v25, v28
	s_branch .LBB16_37
.LBB16_58:                              ;   in Loop: Header=BB16_3 Depth=1
	s_or_b32 exec_lo, exec_lo, s31
.LBB16_59:                              ;   in Loop: Header=BB16_3 Depth=1
	s_delay_alu instid0(SALU_CYCLE_1)
	s_or_b32 exec_lo, exec_lo, s30
.LBB16_60:                              ;   in Loop: Header=BB16_3 Depth=1
	ds_store_b32 v15, v35
	s_wait_loadcnt_dscnt 0x0
	s_barrier_signal -1
	s_barrier_wait -1
	s_wait_xcnt 0x0
	s_and_saveexec_b32 s2, s29
	s_cbranch_execz .LBB16_2
; %bb.61:                               ;   in Loop: Header=BB16_3 Depth=1
	ds_load_2addr_stride64_b32 v[20:21], v15 offset1:1
	ds_load_2addr_stride64_b32 v[22:23], v15 offset0:2 offset1:3
	ds_load_2addr_stride64_b32 v[24:25], v15 offset0:4 offset1:5
	ds_load_2addr_stride64_b32 v[26:27], v15 offset0:6 offset1:7
	v_add_nc_u64_e32 v[18:19], s[8:9], v[18:19]
	s_delay_alu instid0(VALU_DEP_1)
	v_lshl_add_u64 v[18:19], v[10:11], 2, v[18:19]
	s_wait_dscnt 0x3
	v_add_f32_e32 v2, v20, v21
	ds_load_2addr_stride64_b32 v[20:21], v15 offset0:8 offset1:9
	s_wait_dscnt 0x3
	v_add_f32_e32 v2, v22, v2
	s_delay_alu instid0(VALU_DEP_1) | instskip(SKIP_3) | instid1(VALU_DEP_1)
	v_add_f32_e32 v2, v23, v2
	ds_load_2addr_stride64_b32 v[22:23], v15 offset0:10 offset1:11
	s_wait_dscnt 0x3
	v_add_f32_e32 v2, v24, v2
	v_add_f32_e32 v2, v25, v2
	s_wait_dscnt 0x2
	s_delay_alu instid0(VALU_DEP_1) | instskip(NEXT) | instid1(VALU_DEP_1)
	v_add_f32_e32 v2, v26, v2
	v_add_f32_e32 v2, v27, v2
	ds_load_2addr_stride64_b32 v[24:25], v15 offset0:12 offset1:13
	ds_load_2addr_stride64_b32 v[26:27], v15 offset0:14 offset1:15
	s_wait_dscnt 0x3
	v_add_f32_e32 v2, v20, v2
	s_delay_alu instid0(VALU_DEP_1) | instskip(SKIP_1) | instid1(VALU_DEP_1)
	v_add_f32_e32 v2, v21, v2
	s_wait_dscnt 0x2
	v_add_f32_e32 v2, v22, v2
	s_delay_alu instid0(VALU_DEP_1) | instskip(SKIP_1) | instid1(VALU_DEP_1)
	v_add_f32_e32 v2, v23, v2
	s_wait_dscnt 0x1
	v_add_f32_e32 v2, v24, v2
	s_delay_alu instid0(VALU_DEP_1) | instskip(SKIP_1) | instid1(VALU_DEP_1)
	v_add_f32_e32 v2, v25, v2
	s_wait_dscnt 0x0
	v_add_f32_e32 v2, v26, v2
	s_delay_alu instid0(VALU_DEP_1)
	v_add_f32_e32 v2, v27, v2
	ds_store_b32 v15, v2
	flat_store_b32 v[18:19], v2
	s_branch .LBB16_2
.LBB16_62:
	s_endpgm
	.section	.rodata,"a",@progbits
	.p2align	6, 0x0
	.amdhsa_kernel _ZL20rocblas_tbmvx_kernelILi64ELi16EPKPKfPKPfEv18rocblas_operation_bbiiT1_lllS8_T2_llli
		.amdhsa_group_segment_fixed_size 4096
		.amdhsa_private_segment_fixed_size 0
		.amdhsa_kernarg_size 352
		.amdhsa_user_sgpr_count 2
		.amdhsa_user_sgpr_dispatch_ptr 0
		.amdhsa_user_sgpr_queue_ptr 0
		.amdhsa_user_sgpr_kernarg_segment_ptr 1
		.amdhsa_user_sgpr_dispatch_id 0
		.amdhsa_user_sgpr_kernarg_preload_length 0
		.amdhsa_user_sgpr_kernarg_preload_offset 0
		.amdhsa_user_sgpr_private_segment_size 0
		.amdhsa_wavefront_size32 1
		.amdhsa_uses_dynamic_stack 0
		.amdhsa_enable_private_segment 0
		.amdhsa_system_sgpr_workgroup_id_x 1
		.amdhsa_system_sgpr_workgroup_id_y 0
		.amdhsa_system_sgpr_workgroup_id_z 1
		.amdhsa_system_sgpr_workgroup_info 0
		.amdhsa_system_vgpr_workitem_id 1
		.amdhsa_next_free_vgpr 38
		.amdhsa_next_free_sgpr 37
		.amdhsa_named_barrier_count 0
		.amdhsa_reserve_vcc 1
		.amdhsa_float_round_mode_32 0
		.amdhsa_float_round_mode_16_64 0
		.amdhsa_float_denorm_mode_32 3
		.amdhsa_float_denorm_mode_16_64 3
		.amdhsa_fp16_overflow 0
		.amdhsa_memory_ordered 1
		.amdhsa_forward_progress 1
		.amdhsa_inst_pref_size 16
		.amdhsa_round_robin_scheduling 0
		.amdhsa_exception_fp_ieee_invalid_op 0
		.amdhsa_exception_fp_denorm_src 0
		.amdhsa_exception_fp_ieee_div_zero 0
		.amdhsa_exception_fp_ieee_overflow 0
		.amdhsa_exception_fp_ieee_underflow 0
		.amdhsa_exception_fp_ieee_inexact 0
		.amdhsa_exception_int_div_zero 0
	.end_amdhsa_kernel
	.section	.text._ZL20rocblas_tbmvx_kernelILi64ELi16EPKPKfPKPfEv18rocblas_operation_bbiiT1_lllS8_T2_llli,"axG",@progbits,_ZL20rocblas_tbmvx_kernelILi64ELi16EPKPKfPKPfEv18rocblas_operation_bbiiT1_lllS8_T2_llli,comdat
.Lfunc_end16:
	.size	_ZL20rocblas_tbmvx_kernelILi64ELi16EPKPKfPKPfEv18rocblas_operation_bbiiT1_lllS8_T2_llli, .Lfunc_end16-_ZL20rocblas_tbmvx_kernelILi64ELi16EPKPKfPKPfEv18rocblas_operation_bbiiT1_lllS8_T2_llli
                                        ; -- End function
	.set _ZL20rocblas_tbmvx_kernelILi64ELi16EPKPKfPKPfEv18rocblas_operation_bbiiT1_lllS8_T2_llli.num_vgpr, 38
	.set _ZL20rocblas_tbmvx_kernelILi64ELi16EPKPKfPKPfEv18rocblas_operation_bbiiT1_lllS8_T2_llli.num_agpr, 0
	.set _ZL20rocblas_tbmvx_kernelILi64ELi16EPKPKfPKPfEv18rocblas_operation_bbiiT1_lllS8_T2_llli.numbered_sgpr, 37
	.set _ZL20rocblas_tbmvx_kernelILi64ELi16EPKPKfPKPfEv18rocblas_operation_bbiiT1_lllS8_T2_llli.num_named_barrier, 0
	.set _ZL20rocblas_tbmvx_kernelILi64ELi16EPKPKfPKPfEv18rocblas_operation_bbiiT1_lllS8_T2_llli.private_seg_size, 0
	.set _ZL20rocblas_tbmvx_kernelILi64ELi16EPKPKfPKPfEv18rocblas_operation_bbiiT1_lllS8_T2_llli.uses_vcc, 1
	.set _ZL20rocblas_tbmvx_kernelILi64ELi16EPKPKfPKPfEv18rocblas_operation_bbiiT1_lllS8_T2_llli.uses_flat_scratch, 0
	.set _ZL20rocblas_tbmvx_kernelILi64ELi16EPKPKfPKPfEv18rocblas_operation_bbiiT1_lllS8_T2_llli.has_dyn_sized_stack, 0
	.set _ZL20rocblas_tbmvx_kernelILi64ELi16EPKPKfPKPfEv18rocblas_operation_bbiiT1_lllS8_T2_llli.has_recursion, 0
	.set _ZL20rocblas_tbmvx_kernelILi64ELi16EPKPKfPKPfEv18rocblas_operation_bbiiT1_lllS8_T2_llli.has_indirect_call, 0
	.section	.AMDGPU.csdata,"",@progbits
; Kernel info:
; codeLenInByte = 1932
; TotalNumSgprs: 39
; NumVgprs: 38
; ScratchSize: 0
; MemoryBound: 0
; FloatMode: 240
; IeeeMode: 1
; LDSByteSize: 4096 bytes/workgroup (compile time only)
; SGPRBlocks: 0
; VGPRBlocks: 2
; NumSGPRsForWavesPerEU: 39
; NumVGPRsForWavesPerEU: 38
; NamedBarCnt: 0
; Occupancy: 16
; WaveLimiterHint : 1
; COMPUTE_PGM_RSRC2:SCRATCH_EN: 0
; COMPUTE_PGM_RSRC2:USER_SGPR: 2
; COMPUTE_PGM_RSRC2:TRAP_HANDLER: 0
; COMPUTE_PGM_RSRC2:TGID_X_EN: 1
; COMPUTE_PGM_RSRC2:TGID_Y_EN: 0
; COMPUTE_PGM_RSRC2:TGID_Z_EN: 1
; COMPUTE_PGM_RSRC2:TIDIG_COMP_CNT: 1
	.section	.text._ZL19rocblas_copy_kernelIlLi256EPKPdS2_EviT1_lT_lT2_lS4_li,"axG",@progbits,_ZL19rocblas_copy_kernelIlLi256EPKPdS2_EviT1_lT_lT2_lS4_li,comdat
	.globl	_ZL19rocblas_copy_kernelIlLi256EPKPdS2_EviT1_lT_lT2_lS4_li ; -- Begin function _ZL19rocblas_copy_kernelIlLi256EPKPdS2_EviT1_lT_lT2_lS4_li
	.p2align	8
	.type	_ZL19rocblas_copy_kernelIlLi256EPKPdS2_EviT1_lT_lT2_lS4_li,@function
_ZL19rocblas_copy_kernelIlLi256EPKPdS2_EviT1_lT_lT2_lS4_li: ; @_ZL19rocblas_copy_kernelIlLi256EPKPdS2_EviT1_lT_lT2_lS4_li
; %bb.0:
	s_load_b32 s12, s[0:1], 0x48
	s_bfe_u32 s2, ttmp6, 0x40014
	s_lshr_b32 s3, ttmp7, 16
	s_add_co_i32 s2, s2, 1
	s_bfe_u32 s5, ttmp6, 0x40008
	s_mul_i32 s4, s3, s2
	s_getreg_b32 s2, hwreg(HW_REG_IB_STS2, 6, 4)
	s_add_co_i32 s5, s5, s4
	s_cmp_eq_u32 s2, 0
	s_cselect_b32 s13, s3, s5
	s_wait_kmcnt 0x0
	s_cmp_ge_u32 s13, s12
	s_cbranch_scc1 .LBB17_5
; %bb.1:
	s_clause 0x2
	s_load_b32 s14, s[0:1], 0x0
	s_load_b64 s[16:17], s[0:1], 0x18
	s_load_b64 s[18:19], s[0:1], 0x38
	s_bfe_u32 s3, ttmp6, 0x4000c
	s_and_b32 s8, ttmp6, 15
	s_add_co_i32 s3, s3, 1
	v_mov_b32_e32 v5, 0
	s_mul_i32 s3, ttmp9, s3
	s_load_b128 s[4:7], s[0:1], 0x8
	s_add_co_i32 s8, s8, s3
	s_wait_kmcnt 0x0
	s_ashr_i32 s15, s14, 31
	s_cmp_eq_u32 s2, 0
	s_cselect_b32 s2, ttmp9, s8
	s_load_b128 s[8:11], s[0:1], 0x28
	v_lshl_or_b32 v4, s2, 8, v0
	s_lshl_b64 s[2:3], s[6:7], 3
	s_delay_alu instid0(VALU_DEP_1)
	v_mul_u64_e32 v[0:1], s[16:17], v[4:5]
	v_mul_u64_e32 v[2:3], s[18:19], v[4:5]
	v_cmp_gt_i64_e32 vcc_lo, s[14:15], v[4:5]
	s_wait_kmcnt 0x0
	s_lshl_b64 s[0:1], s[10:11], 3
	s_branch .LBB17_3
.LBB17_2:                               ;   in Loop: Header=BB17_3 Depth=1
	s_wait_xcnt 0x0
	s_or_b32 exec_lo, exec_lo, s6
	s_add_co_i32 s13, s13, 0x10000
	s_delay_alu instid0(SALU_CYCLE_1)
	s_cmp_lt_u32 s13, s12
	s_cbranch_scc0 .LBB17_5
.LBB17_3:                               ; =>This Inner Loop Header: Depth=1
	s_and_saveexec_b32 s6, vcc_lo
	s_cbranch_execz .LBB17_2
; %bb.4:                                ;   in Loop: Header=BB17_3 Depth=1
	s_load_b64 s[10:11], s[4:5], s13 offset:0x0 scale_offset
	s_wait_kmcnt 0x0
	s_add_nc_u64 s[10:11], s[10:11], s[2:3]
	s_delay_alu instid0(VALU_DEP_3) | instid1(SALU_CYCLE_1)
	v_lshl_add_u64 v[4:5], v[0:1], 3, s[10:11]
	s_load_b64 s[10:11], s[8:9], s13 offset:0x0 scale_offset
	flat_load_b64 v[4:5], v[4:5]
	s_wait_kmcnt 0x0
	s_add_nc_u64 s[10:11], s[10:11], s[0:1]
	s_delay_alu instid0(SALU_CYCLE_1)
	v_lshl_add_u64 v[6:7], v[2:3], 3, s[10:11]
	s_wait_loadcnt_dscnt 0x0
	flat_store_b64 v[6:7], v[4:5]
	s_branch .LBB17_2
.LBB17_5:
	s_endpgm
	.section	.rodata,"a",@progbits
	.p2align	6, 0x0
	.amdhsa_kernel _ZL19rocblas_copy_kernelIlLi256EPKPdS2_EviT1_lT_lT2_lS4_li
		.amdhsa_group_segment_fixed_size 0
		.amdhsa_private_segment_fixed_size 0
		.amdhsa_kernarg_size 76
		.amdhsa_user_sgpr_count 2
		.amdhsa_user_sgpr_dispatch_ptr 0
		.amdhsa_user_sgpr_queue_ptr 0
		.amdhsa_user_sgpr_kernarg_segment_ptr 1
		.amdhsa_user_sgpr_dispatch_id 0
		.amdhsa_user_sgpr_kernarg_preload_length 0
		.amdhsa_user_sgpr_kernarg_preload_offset 0
		.amdhsa_user_sgpr_private_segment_size 0
		.amdhsa_wavefront_size32 1
		.amdhsa_uses_dynamic_stack 0
		.amdhsa_enable_private_segment 0
		.amdhsa_system_sgpr_workgroup_id_x 1
		.amdhsa_system_sgpr_workgroup_id_y 0
		.amdhsa_system_sgpr_workgroup_id_z 1
		.amdhsa_system_sgpr_workgroup_info 0
		.amdhsa_system_vgpr_workitem_id 0
		.amdhsa_next_free_vgpr 8
		.amdhsa_next_free_sgpr 20
		.amdhsa_named_barrier_count 0
		.amdhsa_reserve_vcc 1
		.amdhsa_float_round_mode_32 0
		.amdhsa_float_round_mode_16_64 0
		.amdhsa_float_denorm_mode_32 3
		.amdhsa_float_denorm_mode_16_64 3
		.amdhsa_fp16_overflow 0
		.amdhsa_memory_ordered 1
		.amdhsa_forward_progress 1
		.amdhsa_inst_pref_size 3
		.amdhsa_round_robin_scheduling 0
		.amdhsa_exception_fp_ieee_invalid_op 0
		.amdhsa_exception_fp_denorm_src 0
		.amdhsa_exception_fp_ieee_div_zero 0
		.amdhsa_exception_fp_ieee_overflow 0
		.amdhsa_exception_fp_ieee_underflow 0
		.amdhsa_exception_fp_ieee_inexact 0
		.amdhsa_exception_int_div_zero 0
	.end_amdhsa_kernel
	.section	.text._ZL19rocblas_copy_kernelIlLi256EPKPdS2_EviT1_lT_lT2_lS4_li,"axG",@progbits,_ZL19rocblas_copy_kernelIlLi256EPKPdS2_EviT1_lT_lT2_lS4_li,comdat
.Lfunc_end17:
	.size	_ZL19rocblas_copy_kernelIlLi256EPKPdS2_EviT1_lT_lT2_lS4_li, .Lfunc_end17-_ZL19rocblas_copy_kernelIlLi256EPKPdS2_EviT1_lT_lT2_lS4_li
                                        ; -- End function
	.set _ZL19rocblas_copy_kernelIlLi256EPKPdS2_EviT1_lT_lT2_lS4_li.num_vgpr, 8
	.set _ZL19rocblas_copy_kernelIlLi256EPKPdS2_EviT1_lT_lT2_lS4_li.num_agpr, 0
	.set _ZL19rocblas_copy_kernelIlLi256EPKPdS2_EviT1_lT_lT2_lS4_li.numbered_sgpr, 20
	.set _ZL19rocblas_copy_kernelIlLi256EPKPdS2_EviT1_lT_lT2_lS4_li.num_named_barrier, 0
	.set _ZL19rocblas_copy_kernelIlLi256EPKPdS2_EviT1_lT_lT2_lS4_li.private_seg_size, 0
	.set _ZL19rocblas_copy_kernelIlLi256EPKPdS2_EviT1_lT_lT2_lS4_li.uses_vcc, 1
	.set _ZL19rocblas_copy_kernelIlLi256EPKPdS2_EviT1_lT_lT2_lS4_li.uses_flat_scratch, 0
	.set _ZL19rocblas_copy_kernelIlLi256EPKPdS2_EviT1_lT_lT2_lS4_li.has_dyn_sized_stack, 0
	.set _ZL19rocblas_copy_kernelIlLi256EPKPdS2_EviT1_lT_lT2_lS4_li.has_recursion, 0
	.set _ZL19rocblas_copy_kernelIlLi256EPKPdS2_EviT1_lT_lT2_lS4_li.has_indirect_call, 0
	.section	.AMDGPU.csdata,"",@progbits
; Kernel info:
; codeLenInByte = 320
; TotalNumSgprs: 22
; NumVgprs: 8
; ScratchSize: 0
; MemoryBound: 0
; FloatMode: 240
; IeeeMode: 1
; LDSByteSize: 0 bytes/workgroup (compile time only)
; SGPRBlocks: 0
; VGPRBlocks: 0
; NumSGPRsForWavesPerEU: 22
; NumVGPRsForWavesPerEU: 8
; NamedBarCnt: 0
; Occupancy: 16
; WaveLimiterHint : 1
; COMPUTE_PGM_RSRC2:SCRATCH_EN: 0
; COMPUTE_PGM_RSRC2:USER_SGPR: 2
; COMPUTE_PGM_RSRC2:TRAP_HANDLER: 0
; COMPUTE_PGM_RSRC2:TGID_X_EN: 1
; COMPUTE_PGM_RSRC2:TGID_Y_EN: 0
; COMPUTE_PGM_RSRC2:TGID_Z_EN: 1
; COMPUTE_PGM_RSRC2:TIDIG_COMP_CNT: 0
	.section	.text._ZL19rocblas_copy_kernelIiLi256EPKPdS2_EviT1_lT_lT2_lS4_li,"axG",@progbits,_ZL19rocblas_copy_kernelIiLi256EPKPdS2_EviT1_lT_lT2_lS4_li,comdat
	.globl	_ZL19rocblas_copy_kernelIiLi256EPKPdS2_EviT1_lT_lT2_lS4_li ; -- Begin function _ZL19rocblas_copy_kernelIiLi256EPKPdS2_EviT1_lT_lT2_lS4_li
	.p2align	8
	.type	_ZL19rocblas_copy_kernelIiLi256EPKPdS2_EviT1_lT_lT2_lS4_li,@function
_ZL19rocblas_copy_kernelIiLi256EPKPdS2_EviT1_lT_lT2_lS4_li: ; @_ZL19rocblas_copy_kernelIiLi256EPKPdS2_EviT1_lT_lT2_lS4_li
; %bb.0:
	s_load_b32 s12, s[0:1], 0x48
	s_bfe_u32 s2, ttmp6, 0x40014
	s_lshr_b32 s3, ttmp7, 16
	s_add_co_i32 s2, s2, 1
	s_bfe_u32 s5, ttmp6, 0x40008
	s_mul_i32 s4, s3, s2
	s_getreg_b32 s2, hwreg(HW_REG_IB_STS2, 6, 4)
	s_add_co_i32 s5, s5, s4
	s_cmp_eq_u32 s2, 0
	s_cselect_b32 s13, s3, s5
	s_wait_kmcnt 0x0
	s_cmp_ge_u32 s13, s12
	s_cbranch_scc1 .LBB18_5
; %bb.1:
	s_clause 0x2
	s_load_b32 s14, s[0:1], 0x0
	s_load_b32 s8, s[0:1], 0x18
	;; [unrolled: 1-line block ×3, first 2 shown]
	s_bfe_u32 s3, ttmp6, 0x4000c
	s_and_b32 s9, ttmp6, 15
	s_add_co_i32 s3, s3, 1
	v_mov_b32_e32 v5, 0
	s_mul_i32 s3, ttmp9, s3
	s_load_b128 s[4:7], s[0:1], 0x8
	s_add_co_i32 s3, s9, s3
	s_wait_kmcnt 0x0
	s_ashr_i32 s15, s14, 31
	s_ashr_i32 s9, s8, 31
	;; [unrolled: 1-line block ×3, first 2 shown]
	s_cmp_eq_u32 s2, 0
	s_cselect_b32 s2, ttmp9, s3
	s_delay_alu instid0(SALU_CYCLE_1) | instskip(NEXT) | instid1(VALU_DEP_1)
	v_lshl_or_b32 v4, s2, 8, v0
	v_mul_u64_e32 v[0:1], s[8:9], v[4:5]
	v_mul_u64_e32 v[2:3], s[10:11], v[4:5]
	s_load_b128 s[8:11], s[0:1], 0x28
	s_lshl_b64 s[2:3], s[6:7], 3
	v_cmp_gt_i64_e32 vcc_lo, s[14:15], v[4:5]
	s_wait_kmcnt 0x0
	s_lshl_b64 s[0:1], s[10:11], 3
	s_branch .LBB18_3
.LBB18_2:                               ;   in Loop: Header=BB18_3 Depth=1
	s_wait_xcnt 0x0
	s_or_b32 exec_lo, exec_lo, s6
	s_add_co_i32 s13, s13, 0x10000
	s_delay_alu instid0(SALU_CYCLE_1)
	s_cmp_lt_u32 s13, s12
	s_cbranch_scc0 .LBB18_5
.LBB18_3:                               ; =>This Inner Loop Header: Depth=1
	s_and_saveexec_b32 s6, vcc_lo
	s_cbranch_execz .LBB18_2
; %bb.4:                                ;   in Loop: Header=BB18_3 Depth=1
	s_load_b64 s[10:11], s[4:5], s13 offset:0x0 scale_offset
	s_wait_kmcnt 0x0
	s_add_nc_u64 s[10:11], s[10:11], s[2:3]
	s_delay_alu instid0(VALU_DEP_3) | instid1(SALU_CYCLE_1)
	v_lshl_add_u64 v[4:5], v[0:1], 3, s[10:11]
	s_load_b64 s[10:11], s[8:9], s13 offset:0x0 scale_offset
	flat_load_b64 v[4:5], v[4:5]
	s_wait_kmcnt 0x0
	s_add_nc_u64 s[10:11], s[10:11], s[0:1]
	s_delay_alu instid0(SALU_CYCLE_1)
	v_lshl_add_u64 v[6:7], v[2:3], 3, s[10:11]
	s_wait_loadcnt_dscnt 0x0
	flat_store_b64 v[6:7], v[4:5]
	s_branch .LBB18_2
.LBB18_5:
	s_endpgm
	.section	.rodata,"a",@progbits
	.p2align	6, 0x0
	.amdhsa_kernel _ZL19rocblas_copy_kernelIiLi256EPKPdS2_EviT1_lT_lT2_lS4_li
		.amdhsa_group_segment_fixed_size 0
		.amdhsa_private_segment_fixed_size 0
		.amdhsa_kernarg_size 76
		.amdhsa_user_sgpr_count 2
		.amdhsa_user_sgpr_dispatch_ptr 0
		.amdhsa_user_sgpr_queue_ptr 0
		.amdhsa_user_sgpr_kernarg_segment_ptr 1
		.amdhsa_user_sgpr_dispatch_id 0
		.amdhsa_user_sgpr_kernarg_preload_length 0
		.amdhsa_user_sgpr_kernarg_preload_offset 0
		.amdhsa_user_sgpr_private_segment_size 0
		.amdhsa_wavefront_size32 1
		.amdhsa_uses_dynamic_stack 0
		.amdhsa_enable_private_segment 0
		.amdhsa_system_sgpr_workgroup_id_x 1
		.amdhsa_system_sgpr_workgroup_id_y 0
		.amdhsa_system_sgpr_workgroup_id_z 1
		.amdhsa_system_sgpr_workgroup_info 0
		.amdhsa_system_vgpr_workitem_id 0
		.amdhsa_next_free_vgpr 8
		.amdhsa_next_free_sgpr 16
		.amdhsa_named_barrier_count 0
		.amdhsa_reserve_vcc 1
		.amdhsa_float_round_mode_32 0
		.amdhsa_float_round_mode_16_64 0
		.amdhsa_float_denorm_mode_32 3
		.amdhsa_float_denorm_mode_16_64 3
		.amdhsa_fp16_overflow 0
		.amdhsa_memory_ordered 1
		.amdhsa_forward_progress 1
		.amdhsa_inst_pref_size 3
		.amdhsa_round_robin_scheduling 0
		.amdhsa_exception_fp_ieee_invalid_op 0
		.amdhsa_exception_fp_denorm_src 0
		.amdhsa_exception_fp_ieee_div_zero 0
		.amdhsa_exception_fp_ieee_overflow 0
		.amdhsa_exception_fp_ieee_underflow 0
		.amdhsa_exception_fp_ieee_inexact 0
		.amdhsa_exception_int_div_zero 0
	.end_amdhsa_kernel
	.section	.text._ZL19rocblas_copy_kernelIiLi256EPKPdS2_EviT1_lT_lT2_lS4_li,"axG",@progbits,_ZL19rocblas_copy_kernelIiLi256EPKPdS2_EviT1_lT_lT2_lS4_li,comdat
.Lfunc_end18:
	.size	_ZL19rocblas_copy_kernelIiLi256EPKPdS2_EviT1_lT_lT2_lS4_li, .Lfunc_end18-_ZL19rocblas_copy_kernelIiLi256EPKPdS2_EviT1_lT_lT2_lS4_li
                                        ; -- End function
	.set _ZL19rocblas_copy_kernelIiLi256EPKPdS2_EviT1_lT_lT2_lS4_li.num_vgpr, 8
	.set _ZL19rocblas_copy_kernelIiLi256EPKPdS2_EviT1_lT_lT2_lS4_li.num_agpr, 0
	.set _ZL19rocblas_copy_kernelIiLi256EPKPdS2_EviT1_lT_lT2_lS4_li.numbered_sgpr, 16
	.set _ZL19rocblas_copy_kernelIiLi256EPKPdS2_EviT1_lT_lT2_lS4_li.num_named_barrier, 0
	.set _ZL19rocblas_copy_kernelIiLi256EPKPdS2_EviT1_lT_lT2_lS4_li.private_seg_size, 0
	.set _ZL19rocblas_copy_kernelIiLi256EPKPdS2_EviT1_lT_lT2_lS4_li.uses_vcc, 1
	.set _ZL19rocblas_copy_kernelIiLi256EPKPdS2_EviT1_lT_lT2_lS4_li.uses_flat_scratch, 0
	.set _ZL19rocblas_copy_kernelIiLi256EPKPdS2_EviT1_lT_lT2_lS4_li.has_dyn_sized_stack, 0
	.set _ZL19rocblas_copy_kernelIiLi256EPKPdS2_EviT1_lT_lT2_lS4_li.has_recursion, 0
	.set _ZL19rocblas_copy_kernelIiLi256EPKPdS2_EviT1_lT_lT2_lS4_li.has_indirect_call, 0
	.section	.AMDGPU.csdata,"",@progbits
; Kernel info:
; codeLenInByte = 328
; TotalNumSgprs: 18
; NumVgprs: 8
; ScratchSize: 0
; MemoryBound: 0
; FloatMode: 240
; IeeeMode: 1
; LDSByteSize: 0 bytes/workgroup (compile time only)
; SGPRBlocks: 0
; VGPRBlocks: 0
; NumSGPRsForWavesPerEU: 18
; NumVGPRsForWavesPerEU: 8
; NamedBarCnt: 0
; Occupancy: 16
; WaveLimiterHint : 1
; COMPUTE_PGM_RSRC2:SCRATCH_EN: 0
; COMPUTE_PGM_RSRC2:USER_SGPR: 2
; COMPUTE_PGM_RSRC2:TRAP_HANDLER: 0
; COMPUTE_PGM_RSRC2:TGID_X_EN: 1
; COMPUTE_PGM_RSRC2:TGID_Y_EN: 0
; COMPUTE_PGM_RSRC2:TGID_Z_EN: 1
; COMPUTE_PGM_RSRC2:TIDIG_COMP_CNT: 0
	.section	.text._ZL20rocblas_tbmvx_kernelILi64ELi16EPKPKdPKPdEv18rocblas_operation_bbiiT1_lllS8_T2_llli,"axG",@progbits,_ZL20rocblas_tbmvx_kernelILi64ELi16EPKPKdPKPdEv18rocblas_operation_bbiiT1_lllS8_T2_llli,comdat
	.globl	_ZL20rocblas_tbmvx_kernelILi64ELi16EPKPKdPKPdEv18rocblas_operation_bbiiT1_lllS8_T2_llli ; -- Begin function _ZL20rocblas_tbmvx_kernelILi64ELi16EPKPKdPKPdEv18rocblas_operation_bbiiT1_lllS8_T2_llli
	.p2align	8
	.type	_ZL20rocblas_tbmvx_kernelILi64ELi16EPKPKdPKPdEv18rocblas_operation_bbiiT1_lllS8_T2_llli,@function
_ZL20rocblas_tbmvx_kernelILi64ELi16EPKPKdPKPdEv18rocblas_operation_bbiiT1_lllS8_T2_llli: ; @_ZL20rocblas_tbmvx_kernelILi64ELi16EPKPKdPKPdEv18rocblas_operation_bbiiT1_lllS8_T2_llli
; %bb.0:
	s_clause 0x1
	s_load_b64 s[4:5], s[0:1], 0x6c
	s_load_b32 s3, s[0:1], 0x58
	s_bfe_u32 s2, ttmp6, 0x40014
	s_lshr_b32 s6, ttmp7, 16
	s_add_co_i32 s2, s2, 1
	s_bfe_u32 s7, ttmp6, 0x40008
	s_mul_i32 s8, s6, s2
	s_getreg_b32 s2, hwreg(HW_REG_IB_STS2, 6, 4)
	s_add_co_i32 s7, s7, s8
	s_wait_kmcnt 0x0
	s_lshr_b32 s8, s4, 16
	s_and_b32 s4, s4, 0xffff
	s_and_b32 s5, s5, 0xffff
	s_mul_i32 s8, s8, s4
	s_cmp_eq_u32 s2, 0
	s_mul_i32 s8, s8, s5
	s_cselect_b32 s19, s6, s7
	s_cmp_lg_u32 s8, 0x400
	s_cselect_b32 s5, -1, 0
	s_cmp_ge_u32 s19, s3
	s_cselect_b32 s6, -1, 0
	s_delay_alu instid0(SALU_CYCLE_1) | instskip(NEXT) | instid1(SALU_CYCLE_1)
	s_or_b32 s5, s5, s6
	s_and_b32 vcc_lo, exec_lo, s5
	s_cbranch_vccnz .LBB19_62
; %bb.1:
	s_clause 0x1
	s_load_b64 s[22:23], s[0:1], 0x0
	s_load_b96 s[16:18], s[0:1], 0x4
	v_and_b32_e32 v1, 0x3ff, v0
	v_bfe_u32 v0, v0, 10, 10
	s_clause 0x1
	s_load_b64 s[20:21], s[0:1], 0x20
	s_load_b128 s[12:15], s[0:1], 0x10
	v_mov_b32_e32 v3, 0
	v_mad_u32_u24 v2, v0, s4, v1
	s_delay_alu instid0(VALU_DEP_2) | instskip(NEXT) | instid1(VALU_DEP_2)
	v_dual_mov_b32 v7, v3 :: v_dual_mov_b32 v9, v3
	v_dual_lshrrev_b32 v6, 6, v2 :: v_dual_bitop2_b32 v14, 63, v2 bitop3:0x40
	v_lshlrev_b32_e32 v15, 3, v2
	v_cmp_gt_u32_e32 vcc_lo, 64, v2
	s_wait_kmcnt 0x0
	s_bitcmp1_b32 s23, 0
	s_mov_b32 s30, s18
	s_cselect_b32 s23, -1, 0
	s_delay_alu instid0(SALU_CYCLE_1)
	s_and_b32 s5, s23, exec_lo
	s_cselect_b32 s25, s18, 0
	s_xor_b32 s24, s23, -1
	s_bitcmp1_b32 s16, 8
	v_mul_u64_e32 v[16:17], s[20:21], v[6:7]
	s_cselect_b32 s26, -1, 0
	s_bfe_u32 s5, ttmp6, 0x4000c
	s_and_b32 s4, ttmp6, 15
	s_add_co_i32 s5, s5, 1
	s_delay_alu instid0(SALU_CYCLE_1) | instskip(NEXT) | instid1(SALU_CYCLE_1)
	s_mul_i32 s5, ttmp9, s5
	s_add_co_i32 s4, s4, s5
	s_cmp_eq_u32 s2, 0
	s_cselect_b32 s2, ttmp9, s4
	s_load_b256 s[4:11], s[0:1], 0x30
	s_lshl_b32 s16, s2, 6
	s_wait_xcnt 0x0
	v_cmp_gt_i64_e64 s1, s[20:21], v[6:7]
	v_or_b32_e32 v0, s16, v14
	v_add_nc_u32_e32 v12, s16, v2
	v_cmp_ge_i32_e64 s2, s18, v6
	s_cmp_lg_u32 s22, 0x6f
	v_dual_lshlrev_b32 v8, 3, v6 :: v_dual_sub_nc_u32 v37, s18, v0
	v_ashrrev_i32_e32 v1, 31, v0
	v_ashrrev_i32_e32 v13, 31, v12
	v_add3_u32 v2, s25, s16, v14
	s_cselect_b32 s16, -1, 0
	v_cmp_gt_i32_e64 s0, s17, v6
	v_mul_u64_e32 v[4:5], s[20:21], v[0:1]
	v_xad_u32 v36, v0, -1, s17
	v_subrev_nc_u32_e32 v14, s18, v0
	v_sub_nc_u32_e32 v38, v2, v6
	s_and_b32 s25, s2, s1
	s_and_b32 s1, s23, s26
	s_wait_kmcnt 0x0
	v_mul_u64_e32 v[10:11], s[10:11], v[12:13]
	s_xor_b32 s26, s26, -1
	s_xor_b32 s27, s1, -1
	s_cmp_lg_u32 s18, 0
	v_cmp_gt_i32_e64 s2, s17, v12
	s_cselect_b32 s22, -1, 0
	s_lshl_b64 s[10:11], s[14:15], 3
	v_cmp_gt_i32_e64 s1, s17, v0
	s_and_b32 s14, s23, s22
	s_ashr_i32 s31, s18, 31
	s_nor_b32 s28, s14, s26
	s_and_b32 s29, vcc_lo, s2
	s_lshl_b64 s[14:15], s[20:21], 7
	s_lshl_b64 s[22:23], s[30:31], 3
	;; [unrolled: 1-line block ×3, first 2 shown]
	v_lshl_add_u64 v[16:17], v[16:17], 3, s[10:11]
	v_lshl_add_u64 v[12:13], v[4:5], 3, s[10:11]
	s_delay_alu instid0(VALU_DEP_1)
	v_add_nc_u64_e32 v[12:13], v[12:13], v[8:9]
	s_branch .LBB19_3
.LBB19_2:                               ;   in Loop: Header=BB19_3 Depth=1
	s_wait_xcnt 0x0
	s_or_b32 exec_lo, exec_lo, s2
	s_add_co_i32 s19, s19, 0x10000
	s_delay_alu instid0(SALU_CYCLE_1)
	s_cmp_lt_u32 s19, s3
	s_cbranch_scc0 .LBB19_62
.LBB19_3:                               ; =>This Loop Header: Depth=1
                                        ;     Child Loop BB19_11 Depth 2
                                        ;     Child Loop BB19_39 Depth 2
	v_mov_b32_e32 v2, s19
	s_and_b32 vcc_lo, exec_lo, s16
	s_mov_b32 s2, -1
                                        ; implicit-def: $vgpr20_vgpr21
	s_clause 0x2
	global_load_b64 v[22:23], v2, s[12:13] scale_offset
	global_load_b64 v[24:25], v2, s[4:5] scale_offset
	;; [unrolled: 1-line block ×3, first 2 shown]
	s_cbranch_vccz .LBB19_34
; %bb.4:                                ;   in Loop: Header=BB19_3 Depth=1
	v_mov_b64_e32 v[20:21], 0
	s_wait_xcnt 0x0
	s_and_saveexec_b32 s30, s25
	s_cbranch_execz .LBB19_33
; %bb.5:                                ;   in Loop: Header=BB19_3 Depth=1
	s_wait_loadcnt 0x2
	v_add_nc_u64_e32 v[30:31], s[10:11], v[22:23]
	v_add_nc_u64_e32 v[28:29], v[22:23], v[12:13]
	v_mov_b64_e32 v[20:21], 0
	v_mov_b64_e32 v[32:33], v[6:7]
	s_wait_loadcnt 0x1
	v_lshl_add_u64 v[26:27], v[0:1], 3, v[24:25]
	s_mov_b32 s31, 0
	v_lshl_add_u64 v[30:31], v[4:5], 3, v[30:31]
	s_branch .LBB19_11
.LBB19_6:                               ;   in Loop: Header=BB19_11 Depth=2
	s_delay_alu instid0(VALU_DEP_1)
	v_mov_b64_e32 v[20:21], v[34:35]
.LBB19_7:                               ;   in Loop: Header=BB19_11 Depth=2
	s_wait_xcnt 0x0
	s_or_b32 exec_lo, exec_lo, s34
.LBB19_8:                               ;   in Loop: Header=BB19_11 Depth=2
	s_delay_alu instid0(SALU_CYCLE_1) | instskip(NEXT) | instid1(VALU_DEP_1)
	s_or_b32 exec_lo, exec_lo, s2
	v_mov_b64_e32 v[34:35], v[20:21]
.LBB19_9:                               ;   in Loop: Header=BB19_11 Depth=2
	s_delay_alu instid0(VALU_DEP_1)
	v_mov_b64_e32 v[20:21], v[34:35]
.LBB19_10:                              ;   in Loop: Header=BB19_11 Depth=2
	s_or_b32 exec_lo, exec_lo, s33
	v_add_nc_u64_e32 v[32:33], 16, v[32:33]
	v_add_nc_u64_e32 v[28:29], 0x80, v[28:29]
	s_delay_alu instid0(VALU_DEP_2) | instskip(SKIP_1) | instid1(VALU_DEP_2)
	v_mov_b32_e32 v2, v32
	v_cmp_lt_i32_e64 s2, s18, v32
	v_cmp_le_u64_e32 vcc_lo, s[20:21], v[2:3]
	s_or_b32 s2, s2, vcc_lo
	s_delay_alu instid0(SALU_CYCLE_1) | instskip(NEXT) | instid1(SALU_CYCLE_1)
	s_and_b32 s2, exec_lo, s2
	s_or_b32 s31, s2, s31
	s_delay_alu instid0(SALU_CYCLE_1)
	s_and_not1_b32 exec_lo, exec_lo, s31
	s_cbranch_execz .LBB19_32
.LBB19_11:                              ;   Parent Loop BB19_3 Depth=1
                                        ; =>  This Inner Loop Header: Depth=2
	s_and_saveexec_b32 s33, s1
	s_cbranch_execz .LBB19_10
; %bb.12:                               ;   in Loop: Header=BB19_11 Depth=2
	s_and_b32 vcc_lo, exec_lo, s24
	s_mov_b32 s2, -1
                                        ; implicit-def: $vgpr34_vgpr35
	s_cbranch_vccz .LBB19_23
; %bb.13:                               ;   in Loop: Header=BB19_11 Depth=2
	v_cmp_eq_u64_e32 vcc_lo, 0, v[32:33]
	v_cmp_lt_i32_e64 s2, v36, v32
                                        ; implicit-def: $vgpr34_vgpr35
	s_or_b32 s2, vcc_lo, s2
	s_delay_alu instid0(SALU_CYCLE_1) | instskip(NEXT) | instid1(SALU_CYCLE_1)
	s_and_saveexec_b32 s34, s2
	s_xor_b32 s2, exec_lo, s34
	s_cbranch_execz .LBB19_20
; %bb.14:                               ;   in Loop: Header=BB19_11 Depth=2
	v_mov_b64_e32 v[34:35], v[20:21]
	s_mov_b32 s34, exec_lo
	v_cmpx_eq_u64_e32 0, v[32:33]
	s_cbranch_execz .LBB19_19
; %bb.15:                               ;   in Loop: Header=BB19_11 Depth=2
	s_and_b32 vcc_lo, exec_lo, s26
	s_mov_b32 s35, -1
                                        ; implicit-def: $vgpr34_vgpr35
	s_cbranch_vccz .LBB19_17
; %bb.16:                               ;   in Loop: Header=BB19_11 Depth=2
	flat_load_b64 v[34:35], v[30:31]
	flat_load_b64 v[40:41], v[26:27]
	s_mov_b32 s35, 0
	s_wait_loadcnt_dscnt 0x0
	v_fma_f64 v[34:35], v[34:35], v[40:41], v[20:21]
.LBB19_17:                              ;   in Loop: Header=BB19_11 Depth=2
	s_and_not1_b32 vcc_lo, exec_lo, s35
	s_cbranch_vccnz .LBB19_19
; %bb.18:                               ;   in Loop: Header=BB19_11 Depth=2
	flat_load_b64 v[34:35], v[26:27]
	s_wait_loadcnt_dscnt 0x0
	v_add_f64_e32 v[34:35], v[20:21], v[34:35]
.LBB19_19:                              ;   in Loop: Header=BB19_11 Depth=2
	s_wait_xcnt 0x0
	s_or_b32 exec_lo, exec_lo, s34
.LBB19_20:                              ;   in Loop: Header=BB19_11 Depth=2
	s_and_not1_saveexec_b32 s2, s2
	s_cbranch_execz .LBB19_22
; %bb.21:                               ;   in Loop: Header=BB19_11 Depth=2
	v_add_nc_u32_e32 v2, v0, v32
	v_readfirstlane_b32 s34, v24
	v_readfirstlane_b32 s35, v25
	flat_load_b64 v[34:35], v[28:29]
	flat_load_b64 v[40:41], v2, s[34:35] scale_offset
	s_wait_loadcnt_dscnt 0x0
	v_fma_f64 v[34:35], v[34:35], v[40:41], v[20:21]
.LBB19_22:                              ;   in Loop: Header=BB19_11 Depth=2
	s_wait_xcnt 0x0
	s_or_b32 exec_lo, exec_lo, s2
	s_mov_b32 s2, 0
.LBB19_23:                              ;   in Loop: Header=BB19_11 Depth=2
	s_delay_alu instid0(SALU_CYCLE_1)
	s_and_not1_b32 vcc_lo, exec_lo, s2
	s_cbranch_vccnz .LBB19_9
; %bb.24:                               ;   in Loop: Header=BB19_11 Depth=2
	v_cmp_gt_i32_e32 vcc_lo, s18, v32
	v_cmp_le_i32_e64 s2, v37, v32
	s_and_b32 s2, vcc_lo, s2
	s_delay_alu instid0(SALU_CYCLE_1) | instskip(NEXT) | instid1(SALU_CYCLE_1)
	s_and_saveexec_b32 s34, s2
	s_xor_b32 s2, exec_lo, s34
	s_cbranch_execz .LBB19_26
; %bb.25:                               ;   in Loop: Header=BB19_11 Depth=2
	v_add_nc_u32_e32 v2, v14, v32
	v_readfirstlane_b32 s34, v24
	v_readfirstlane_b32 s35, v25
	flat_load_b64 v[34:35], v[28:29]
	flat_load_b64 v[40:41], v2, s[34:35] scale_offset
	s_wait_loadcnt_dscnt 0x0
	v_fmac_f64_e32 v[20:21], v[34:35], v[40:41]
.LBB19_26:                              ;   in Loop: Header=BB19_11 Depth=2
	s_wait_xcnt 0x0
	s_and_not1_saveexec_b32 s2, s2
	s_cbranch_execz .LBB19_8
; %bb.27:                               ;   in Loop: Header=BB19_11 Depth=2
	s_mov_b32 s34, exec_lo
	v_cmpx_eq_u32_e64 s18, v32
	s_cbranch_execz .LBB19_7
; %bb.28:                               ;   in Loop: Header=BB19_11 Depth=2
	s_and_b32 vcc_lo, exec_lo, s26
	s_mov_b32 s35, -1
                                        ; implicit-def: $vgpr34_vgpr35
	s_cbranch_vccz .LBB19_30
; %bb.29:                               ;   in Loop: Header=BB19_11 Depth=2
	flat_load_b64 v[34:35], v[28:29]
	flat_load_b64 v[40:41], v[26:27]
	s_mov_b32 s35, 0
	s_wait_loadcnt_dscnt 0x0
	v_fma_f64 v[34:35], v[34:35], v[40:41], v[20:21]
.LBB19_30:                              ;   in Loop: Header=BB19_11 Depth=2
	s_and_not1_b32 vcc_lo, exec_lo, s35
	s_cbranch_vccnz .LBB19_6
; %bb.31:                               ;   in Loop: Header=BB19_11 Depth=2
	flat_load_b64 v[34:35], v[26:27]
	s_wait_loadcnt_dscnt 0x0
	v_add_f64_e32 v[34:35], v[20:21], v[34:35]
	s_branch .LBB19_6
.LBB19_32:                              ;   in Loop: Header=BB19_3 Depth=1
	s_or_b32 exec_lo, exec_lo, s31
.LBB19_33:                              ;   in Loop: Header=BB19_3 Depth=1
	s_delay_alu instid0(SALU_CYCLE_1)
	s_or_b32 exec_lo, exec_lo, s30
	s_mov_b32 s2, 0
.LBB19_34:                              ;   in Loop: Header=BB19_3 Depth=1
	s_delay_alu instid0(SALU_CYCLE_1)
	s_and_not1_b32 vcc_lo, exec_lo, s2
	s_cbranch_vccnz .LBB19_60
; %bb.35:                               ;   in Loop: Header=BB19_3 Depth=1
	v_mov_b64_e32 v[20:21], 0
	s_wait_xcnt 0x0
	s_and_saveexec_b32 s30, s0
	s_cbranch_execz .LBB19_59
; %bb.36:                               ;   in Loop: Header=BB19_3 Depth=1
	s_wait_loadcnt 0x1
	v_add_nc_u64_e32 v[24:25], v[24:25], v[8:9]
	v_add_nc_u64_e32 v[22:23], v[22:23], v[16:17]
	v_mov_b64_e32 v[20:21], 0
	v_dual_mov_b32 v2, v38 :: v_dual_mov_b32 v28, v6
	s_mov_b32 s31, 0
	s_branch .LBB19_39
.LBB19_37:                              ;   in Loop: Header=BB19_39 Depth=2
	s_wait_xcnt 0x0
	s_or_b32 exec_lo, exec_lo, s2
.LBB19_38:                              ;   in Loop: Header=BB19_39 Depth=2
	s_delay_alu instid0(SALU_CYCLE_1) | instskip(SKIP_3) | instid1(VALU_DEP_3)
	s_or_b32 exec_lo, exec_lo, s33
	v_dual_add_nc_u32 v28, 16, v28 :: v_dual_add_nc_u32 v2, -16, v2
	v_add_nc_u64_e32 v[24:25], 0x80, v[24:25]
	v_add_nc_u64_e32 v[22:23], s[14:15], v[22:23]
	v_cmp_le_i32_e32 vcc_lo, s17, v28
	s_or_b32 s31, vcc_lo, s31
	s_delay_alu instid0(SALU_CYCLE_1)
	s_and_not1_b32 exec_lo, exec_lo, s31
	s_cbranch_execz .LBB19_58
.LBB19_39:                              ;   Parent Loop BB19_3 Depth=1
                                        ; =>  This Inner Loop Header: Depth=2
	s_and_saveexec_b32 s33, s1
	s_cbranch_execz .LBB19_38
; %bb.40:                               ;   in Loop: Header=BB19_39 Depth=2
	v_cmp_le_i32_e32 vcc_lo, s18, v2
	v_cmp_gt_i32_e64 s2, 1, v2
	s_or_b32 s2, vcc_lo, s2
	s_delay_alu instid0(SALU_CYCLE_1) | instskip(NEXT) | instid1(SALU_CYCLE_1)
	s_and_saveexec_b32 s34, s2
	s_xor_b32 s2, exec_lo, s34
	s_cbranch_execz .LBB19_56
; %bb.41:                               ;   in Loop: Header=BB19_39 Depth=2
	s_mov_b32 s34, exec_lo
	v_cmpx_ne_u32_e32 0, v2
	s_xor_b32 s34, exec_lo, s34
	s_cbranch_execz .LBB19_49
; %bb.42:                               ;   in Loop: Header=BB19_39 Depth=2
	s_mov_b32 s35, exec_lo
	v_cmpx_eq_u32_e64 s18, v2
	s_cbranch_execz .LBB19_48
; %bb.43:                               ;   in Loop: Header=BB19_39 Depth=2
	s_and_b32 vcc_lo, exec_lo, s27
	s_mov_b32 s36, -1
                                        ; implicit-def: $vgpr26_vgpr27
	s_cbranch_vccz .LBB19_45
; %bb.44:                               ;   in Loop: Header=BB19_39 Depth=2
	v_add_nc_u64_e32 v[26:27], s[22:23], v[22:23]
	s_mov_b32 s36, 0
	flat_load_b64 v[30:31], v[26:27]
	flat_load_b64 v[32:33], v[24:25]
	s_wait_loadcnt_dscnt 0x0
	s_wait_xcnt 0x1
	v_fma_f64 v[26:27], v[30:31], v[32:33], v[20:21]
.LBB19_45:                              ;   in Loop: Header=BB19_39 Depth=2
	s_and_not1_b32 vcc_lo, exec_lo, s36
	s_cbranch_vccnz .LBB19_47
; %bb.46:                               ;   in Loop: Header=BB19_39 Depth=2
	flat_load_b64 v[26:27], v[24:25]
	s_wait_loadcnt_dscnt 0x0
	v_add_f64_e32 v[26:27], v[20:21], v[26:27]
.LBB19_47:                              ;   in Loop: Header=BB19_39 Depth=2
	s_delay_alu instid0(VALU_DEP_1)
	v_mov_b64_e32 v[20:21], v[26:27]
.LBB19_48:                              ;   in Loop: Header=BB19_39 Depth=2
	s_wait_xcnt 0x0
	s_or_b32 exec_lo, exec_lo, s35
.LBB19_49:                              ;   in Loop: Header=BB19_39 Depth=2
	s_and_not1_saveexec_b32 s34, s34
	s_cbranch_execz .LBB19_55
; %bb.50:                               ;   in Loop: Header=BB19_39 Depth=2
	s_and_not1_b32 vcc_lo, exec_lo, s28
	s_mov_b32 s35, -1
                                        ; implicit-def: $vgpr26_vgpr27
	s_cbranch_vccnz .LBB19_52
; %bb.51:                               ;   in Loop: Header=BB19_39 Depth=2
	flat_load_b64 v[26:27], v[24:25]
	s_mov_b32 s35, 0
	s_wait_loadcnt_dscnt 0x0
	v_add_f64_e32 v[26:27], v[20:21], v[26:27]
.LBB19_52:                              ;   in Loop: Header=BB19_39 Depth=2
	s_and_not1_b32 vcc_lo, exec_lo, s35
	s_cbranch_vccnz .LBB19_54
; %bb.53:                               ;   in Loop: Header=BB19_39 Depth=2
	flat_load_b64 v[26:27], v[22:23]
	flat_load_b64 v[30:31], v[24:25]
	s_wait_loadcnt_dscnt 0x0
	v_fmac_f64_e32 v[20:21], v[26:27], v[30:31]
	s_delay_alu instid0(VALU_DEP_1)
	v_mov_b64_e32 v[26:27], v[20:21]
.LBB19_54:                              ;   in Loop: Header=BB19_39 Depth=2
	s_delay_alu instid0(VALU_DEP_1)
	v_mov_b64_e32 v[20:21], v[26:27]
.LBB19_55:                              ;   in Loop: Header=BB19_39 Depth=2
	s_wait_xcnt 0x0
	s_or_b32 exec_lo, exec_lo, s34
.LBB19_56:                              ;   in Loop: Header=BB19_39 Depth=2
	s_and_not1_saveexec_b32 s2, s2
	s_cbranch_execz .LBB19_37
; %bb.57:                               ;   in Loop: Header=BB19_39 Depth=2
	v_lshl_add_u64 v[26:27], v[2:3], 3, v[22:23]
	flat_load_b64 v[30:31], v[26:27]
	flat_load_b64 v[32:33], v[24:25]
	s_wait_loadcnt_dscnt 0x0
	v_fmac_f64_e32 v[20:21], v[30:31], v[32:33]
	s_branch .LBB19_37
.LBB19_58:                              ;   in Loop: Header=BB19_3 Depth=1
	s_or_b32 exec_lo, exec_lo, s31
.LBB19_59:                              ;   in Loop: Header=BB19_3 Depth=1
	s_delay_alu instid0(SALU_CYCLE_1)
	s_or_b32 exec_lo, exec_lo, s30
.LBB19_60:                              ;   in Loop: Header=BB19_3 Depth=1
	ds_store_b64 v15, v[20:21]
	s_wait_loadcnt_dscnt 0x0
	s_barrier_signal -1
	s_barrier_wait -1
	s_wait_xcnt 0x0
	s_and_saveexec_b32 s2, s29
	s_cbranch_execz .LBB19_2
; %bb.61:                               ;   in Loop: Header=BB19_3 Depth=1
	ds_load_2addr_stride64_b64 v[20:23], v15 offset1:1
	ds_load_2addr_stride64_b64 v[24:27], v15 offset0:2 offset1:3
	v_add_nc_u64_e32 v[18:19], s[8:9], v[18:19]
	s_delay_alu instid0(VALU_DEP_1) | instskip(SKIP_3) | instid1(VALU_DEP_1)
	v_lshl_add_u64 v[18:19], v[10:11], 3, v[18:19]
	s_wait_dscnt 0x1
	v_add_f64_e32 v[20:21], v[20:21], v[22:23]
	s_wait_dscnt 0x0
	v_add_f64_e32 v[20:21], v[24:25], v[20:21]
	s_delay_alu instid0(VALU_DEP_1) | instskip(SKIP_4) | instid1(VALU_DEP_1)
	v_add_f64_e32 v[28:29], v[26:27], v[20:21]
	ds_load_2addr_stride64_b64 v[20:23], v15 offset0:4 offset1:5
	ds_load_2addr_stride64_b64 v[24:27], v15 offset0:6 offset1:7
	s_wait_dscnt 0x1
	v_add_f64_e32 v[20:21], v[20:21], v[28:29]
	v_add_f64_e32 v[20:21], v[22:23], v[20:21]
	s_wait_dscnt 0x0
	s_delay_alu instid0(VALU_DEP_1) | instskip(NEXT) | instid1(VALU_DEP_1)
	v_add_f64_e32 v[20:21], v[24:25], v[20:21]
	v_add_f64_e32 v[28:29], v[26:27], v[20:21]
	ds_load_2addr_stride64_b64 v[20:23], v15 offset0:8 offset1:9
	ds_load_2addr_stride64_b64 v[24:27], v15 offset0:10 offset1:11
	s_wait_dscnt 0x1
	v_add_f64_e32 v[20:21], v[20:21], v[28:29]
	s_delay_alu instid0(VALU_DEP_1) | instskip(SKIP_1) | instid1(VALU_DEP_1)
	v_add_f64_e32 v[20:21], v[22:23], v[20:21]
	s_wait_dscnt 0x0
	v_add_f64_e32 v[20:21], v[24:25], v[20:21]
	s_delay_alu instid0(VALU_DEP_1) | instskip(SKIP_4) | instid1(VALU_DEP_1)
	v_add_f64_e32 v[28:29], v[26:27], v[20:21]
	ds_load_2addr_stride64_b64 v[20:23], v15 offset0:12 offset1:13
	ds_load_2addr_stride64_b64 v[24:27], v15 offset0:14 offset1:15
	s_wait_dscnt 0x1
	v_add_f64_e32 v[20:21], v[20:21], v[28:29]
	v_add_f64_e32 v[20:21], v[22:23], v[20:21]
	s_wait_dscnt 0x0
	s_delay_alu instid0(VALU_DEP_1) | instskip(NEXT) | instid1(VALU_DEP_1)
	v_add_f64_e32 v[20:21], v[24:25], v[20:21]
	v_add_f64_e32 v[20:21], v[26:27], v[20:21]
	ds_store_b64 v15, v[20:21]
	flat_store_b64 v[18:19], v[20:21]
	s_branch .LBB19_2
.LBB19_62:
	s_endpgm
	.section	.rodata,"a",@progbits
	.p2align	6, 0x0
	.amdhsa_kernel _ZL20rocblas_tbmvx_kernelILi64ELi16EPKPKdPKPdEv18rocblas_operation_bbiiT1_lllS8_T2_llli
		.amdhsa_group_segment_fixed_size 8192
		.amdhsa_private_segment_fixed_size 0
		.amdhsa_kernarg_size 352
		.amdhsa_user_sgpr_count 2
		.amdhsa_user_sgpr_dispatch_ptr 0
		.amdhsa_user_sgpr_queue_ptr 0
		.amdhsa_user_sgpr_kernarg_segment_ptr 1
		.amdhsa_user_sgpr_dispatch_id 0
		.amdhsa_user_sgpr_kernarg_preload_length 0
		.amdhsa_user_sgpr_kernarg_preload_offset 0
		.amdhsa_user_sgpr_private_segment_size 0
		.amdhsa_wavefront_size32 1
		.amdhsa_uses_dynamic_stack 0
		.amdhsa_enable_private_segment 0
		.amdhsa_system_sgpr_workgroup_id_x 1
		.amdhsa_system_sgpr_workgroup_id_y 0
		.amdhsa_system_sgpr_workgroup_id_z 1
		.amdhsa_system_sgpr_workgroup_info 0
		.amdhsa_system_vgpr_workitem_id 1
		.amdhsa_next_free_vgpr 42
		.amdhsa_next_free_sgpr 37
		.amdhsa_named_barrier_count 0
		.amdhsa_reserve_vcc 1
		.amdhsa_float_round_mode_32 0
		.amdhsa_float_round_mode_16_64 0
		.amdhsa_float_denorm_mode_32 3
		.amdhsa_float_denorm_mode_16_64 3
		.amdhsa_fp16_overflow 0
		.amdhsa_memory_ordered 1
		.amdhsa_forward_progress 1
		.amdhsa_inst_pref_size 16
		.amdhsa_round_robin_scheduling 0
		.amdhsa_exception_fp_ieee_invalid_op 0
		.amdhsa_exception_fp_denorm_src 0
		.amdhsa_exception_fp_ieee_div_zero 0
		.amdhsa_exception_fp_ieee_overflow 0
		.amdhsa_exception_fp_ieee_underflow 0
		.amdhsa_exception_fp_ieee_inexact 0
		.amdhsa_exception_int_div_zero 0
	.end_amdhsa_kernel
	.section	.text._ZL20rocblas_tbmvx_kernelILi64ELi16EPKPKdPKPdEv18rocblas_operation_bbiiT1_lllS8_T2_llli,"axG",@progbits,_ZL20rocblas_tbmvx_kernelILi64ELi16EPKPKdPKPdEv18rocblas_operation_bbiiT1_lllS8_T2_llli,comdat
.Lfunc_end19:
	.size	_ZL20rocblas_tbmvx_kernelILi64ELi16EPKPKdPKPdEv18rocblas_operation_bbiiT1_lllS8_T2_llli, .Lfunc_end19-_ZL20rocblas_tbmvx_kernelILi64ELi16EPKPKdPKPdEv18rocblas_operation_bbiiT1_lllS8_T2_llli
                                        ; -- End function
	.set _ZL20rocblas_tbmvx_kernelILi64ELi16EPKPKdPKPdEv18rocblas_operation_bbiiT1_lllS8_T2_llli.num_vgpr, 42
	.set _ZL20rocblas_tbmvx_kernelILi64ELi16EPKPKdPKPdEv18rocblas_operation_bbiiT1_lllS8_T2_llli.num_agpr, 0
	.set _ZL20rocblas_tbmvx_kernelILi64ELi16EPKPKdPKPdEv18rocblas_operation_bbiiT1_lllS8_T2_llli.numbered_sgpr, 37
	.set _ZL20rocblas_tbmvx_kernelILi64ELi16EPKPKdPKPdEv18rocblas_operation_bbiiT1_lllS8_T2_llli.num_named_barrier, 0
	.set _ZL20rocblas_tbmvx_kernelILi64ELi16EPKPKdPKPdEv18rocblas_operation_bbiiT1_lllS8_T2_llli.private_seg_size, 0
	.set _ZL20rocblas_tbmvx_kernelILi64ELi16EPKPKdPKPdEv18rocblas_operation_bbiiT1_lllS8_T2_llli.uses_vcc, 1
	.set _ZL20rocblas_tbmvx_kernelILi64ELi16EPKPKdPKPdEv18rocblas_operation_bbiiT1_lllS8_T2_llli.uses_flat_scratch, 0
	.set _ZL20rocblas_tbmvx_kernelILi64ELi16EPKPKdPKPdEv18rocblas_operation_bbiiT1_lllS8_T2_llli.has_dyn_sized_stack, 0
	.set _ZL20rocblas_tbmvx_kernelILi64ELi16EPKPKdPKPdEv18rocblas_operation_bbiiT1_lllS8_T2_llli.has_recursion, 0
	.set _ZL20rocblas_tbmvx_kernelILi64ELi16EPKPKdPKPdEv18rocblas_operation_bbiiT1_lllS8_T2_llli.has_indirect_call, 0
	.section	.AMDGPU.csdata,"",@progbits
; Kernel info:
; codeLenInByte = 1944
; TotalNumSgprs: 39
; NumVgprs: 42
; ScratchSize: 0
; MemoryBound: 1
; FloatMode: 240
; IeeeMode: 1
; LDSByteSize: 8192 bytes/workgroup (compile time only)
; SGPRBlocks: 0
; VGPRBlocks: 2
; NumSGPRsForWavesPerEU: 39
; NumVGPRsForWavesPerEU: 42
; NamedBarCnt: 0
; Occupancy: 16
; WaveLimiterHint : 1
; COMPUTE_PGM_RSRC2:SCRATCH_EN: 0
; COMPUTE_PGM_RSRC2:USER_SGPR: 2
; COMPUTE_PGM_RSRC2:TRAP_HANDLER: 0
; COMPUTE_PGM_RSRC2:TGID_X_EN: 1
; COMPUTE_PGM_RSRC2:TGID_Y_EN: 0
; COMPUTE_PGM_RSRC2:TGID_Z_EN: 1
; COMPUTE_PGM_RSRC2:TIDIG_COMP_CNT: 1
	.section	.text._ZL19rocblas_copy_kernelIlLi256EPKP19rocblas_complex_numIfES4_EviT1_lT_lT2_lS6_li,"axG",@progbits,_ZL19rocblas_copy_kernelIlLi256EPKP19rocblas_complex_numIfES4_EviT1_lT_lT2_lS6_li,comdat
	.globl	_ZL19rocblas_copy_kernelIlLi256EPKP19rocblas_complex_numIfES4_EviT1_lT_lT2_lS6_li ; -- Begin function _ZL19rocblas_copy_kernelIlLi256EPKP19rocblas_complex_numIfES4_EviT1_lT_lT2_lS6_li
	.p2align	8
	.type	_ZL19rocblas_copy_kernelIlLi256EPKP19rocblas_complex_numIfES4_EviT1_lT_lT2_lS6_li,@function
_ZL19rocblas_copy_kernelIlLi256EPKP19rocblas_complex_numIfES4_EviT1_lT_lT2_lS6_li: ; @_ZL19rocblas_copy_kernelIlLi256EPKP19rocblas_complex_numIfES4_EviT1_lT_lT2_lS6_li
; %bb.0:
	s_load_b32 s12, s[0:1], 0x48
	s_bfe_u32 s2, ttmp6, 0x40014
	s_lshr_b32 s3, ttmp7, 16
	s_add_co_i32 s2, s2, 1
	s_bfe_u32 s5, ttmp6, 0x40008
	s_mul_i32 s4, s3, s2
	s_getreg_b32 s2, hwreg(HW_REG_IB_STS2, 6, 4)
	s_add_co_i32 s5, s5, s4
	s_cmp_eq_u32 s2, 0
	s_cselect_b32 s13, s3, s5
	s_wait_kmcnt 0x0
	s_cmp_ge_u32 s13, s12
	s_cbranch_scc1 .LBB20_5
; %bb.1:
	s_clause 0x2
	s_load_b32 s14, s[0:1], 0x0
	s_load_b64 s[16:17], s[0:1], 0x18
	s_load_b64 s[18:19], s[0:1], 0x38
	s_bfe_u32 s3, ttmp6, 0x4000c
	s_and_b32 s8, ttmp6, 15
	s_add_co_i32 s3, s3, 1
	v_mov_b32_e32 v5, 0
	s_mul_i32 s3, ttmp9, s3
	s_load_b128 s[4:7], s[0:1], 0x8
	s_add_co_i32 s8, s8, s3
	s_wait_kmcnt 0x0
	s_ashr_i32 s15, s14, 31
	s_cmp_eq_u32 s2, 0
	s_cselect_b32 s2, ttmp9, s8
	s_load_b128 s[8:11], s[0:1], 0x28
	v_lshl_or_b32 v4, s2, 8, v0
	s_lshl_b64 s[2:3], s[6:7], 3
	s_delay_alu instid0(VALU_DEP_1)
	v_mul_u64_e32 v[0:1], s[16:17], v[4:5]
	v_mul_u64_e32 v[2:3], s[18:19], v[4:5]
	v_cmp_gt_i64_e32 vcc_lo, s[14:15], v[4:5]
	s_wait_kmcnt 0x0
	s_lshl_b64 s[0:1], s[10:11], 3
	s_branch .LBB20_3
.LBB20_2:                               ;   in Loop: Header=BB20_3 Depth=1
	s_wait_xcnt 0x0
	s_or_b32 exec_lo, exec_lo, s6
	s_add_co_i32 s13, s13, 0x10000
	s_delay_alu instid0(SALU_CYCLE_1)
	s_cmp_lt_u32 s13, s12
	s_cbranch_scc0 .LBB20_5
.LBB20_3:                               ; =>This Inner Loop Header: Depth=1
	s_and_saveexec_b32 s6, vcc_lo
	s_cbranch_execz .LBB20_2
; %bb.4:                                ;   in Loop: Header=BB20_3 Depth=1
	v_mov_b32_e32 v8, s13
	s_clause 0x1
	global_load_b64 v[4:5], v8, s[4:5] scale_offset
	global_load_b64 v[6:7], v8, s[8:9] scale_offset
	s_wait_loadcnt 0x1
	v_add_nc_u64_e32 v[4:5], s[2:3], v[4:5]
	s_wait_loadcnt 0x0
	v_add_nc_u64_e32 v[6:7], s[0:1], v[6:7]
	s_delay_alu instid0(VALU_DEP_2) | instskip(NEXT) | instid1(VALU_DEP_2)
	v_lshl_add_u64 v[4:5], v[0:1], 3, v[4:5]
	v_lshl_add_u64 v[6:7], v[2:3], 3, v[6:7]
	flat_load_b64 v[4:5], v[4:5]
	s_wait_loadcnt_dscnt 0x0
	flat_store_b64 v[6:7], v[4:5]
	s_branch .LBB20_2
.LBB20_5:
	s_endpgm
	.section	.rodata,"a",@progbits
	.p2align	6, 0x0
	.amdhsa_kernel _ZL19rocblas_copy_kernelIlLi256EPKP19rocblas_complex_numIfES4_EviT1_lT_lT2_lS6_li
		.amdhsa_group_segment_fixed_size 0
		.amdhsa_private_segment_fixed_size 0
		.amdhsa_kernarg_size 76
		.amdhsa_user_sgpr_count 2
		.amdhsa_user_sgpr_dispatch_ptr 0
		.amdhsa_user_sgpr_queue_ptr 0
		.amdhsa_user_sgpr_kernarg_segment_ptr 1
		.amdhsa_user_sgpr_dispatch_id 0
		.amdhsa_user_sgpr_kernarg_preload_length 0
		.amdhsa_user_sgpr_kernarg_preload_offset 0
		.amdhsa_user_sgpr_private_segment_size 0
		.amdhsa_wavefront_size32 1
		.amdhsa_uses_dynamic_stack 0
		.amdhsa_enable_private_segment 0
		.amdhsa_system_sgpr_workgroup_id_x 1
		.amdhsa_system_sgpr_workgroup_id_y 0
		.amdhsa_system_sgpr_workgroup_id_z 1
		.amdhsa_system_sgpr_workgroup_info 0
		.amdhsa_system_vgpr_workitem_id 0
		.amdhsa_next_free_vgpr 9
		.amdhsa_next_free_sgpr 20
		.amdhsa_named_barrier_count 0
		.amdhsa_reserve_vcc 1
		.amdhsa_float_round_mode_32 0
		.amdhsa_float_round_mode_16_64 0
		.amdhsa_float_denorm_mode_32 3
		.amdhsa_float_denorm_mode_16_64 3
		.amdhsa_fp16_overflow 0
		.amdhsa_memory_ordered 1
		.amdhsa_forward_progress 1
		.amdhsa_inst_pref_size 3
		.amdhsa_round_robin_scheduling 0
		.amdhsa_exception_fp_ieee_invalid_op 0
		.amdhsa_exception_fp_denorm_src 0
		.amdhsa_exception_fp_ieee_div_zero 0
		.amdhsa_exception_fp_ieee_overflow 0
		.amdhsa_exception_fp_ieee_underflow 0
		.amdhsa_exception_fp_ieee_inexact 0
		.amdhsa_exception_int_div_zero 0
	.end_amdhsa_kernel
	.section	.text._ZL19rocblas_copy_kernelIlLi256EPKP19rocblas_complex_numIfES4_EviT1_lT_lT2_lS6_li,"axG",@progbits,_ZL19rocblas_copy_kernelIlLi256EPKP19rocblas_complex_numIfES4_EviT1_lT_lT2_lS6_li,comdat
.Lfunc_end20:
	.size	_ZL19rocblas_copy_kernelIlLi256EPKP19rocblas_complex_numIfES4_EviT1_lT_lT2_lS6_li, .Lfunc_end20-_ZL19rocblas_copy_kernelIlLi256EPKP19rocblas_complex_numIfES4_EviT1_lT_lT2_lS6_li
                                        ; -- End function
	.set _ZL19rocblas_copy_kernelIlLi256EPKP19rocblas_complex_numIfES4_EviT1_lT_lT2_lS6_li.num_vgpr, 9
	.set _ZL19rocblas_copy_kernelIlLi256EPKP19rocblas_complex_numIfES4_EviT1_lT_lT2_lS6_li.num_agpr, 0
	.set _ZL19rocblas_copy_kernelIlLi256EPKP19rocblas_complex_numIfES4_EviT1_lT_lT2_lS6_li.numbered_sgpr, 20
	.set _ZL19rocblas_copy_kernelIlLi256EPKP19rocblas_complex_numIfES4_EviT1_lT_lT2_lS6_li.num_named_barrier, 0
	.set _ZL19rocblas_copy_kernelIlLi256EPKP19rocblas_complex_numIfES4_EviT1_lT_lT2_lS6_li.private_seg_size, 0
	.set _ZL19rocblas_copy_kernelIlLi256EPKP19rocblas_complex_numIfES4_EviT1_lT_lT2_lS6_li.uses_vcc, 1
	.set _ZL19rocblas_copy_kernelIlLi256EPKP19rocblas_complex_numIfES4_EviT1_lT_lT2_lS6_li.uses_flat_scratch, 0
	.set _ZL19rocblas_copy_kernelIlLi256EPKP19rocblas_complex_numIfES4_EviT1_lT_lT2_lS6_li.has_dyn_sized_stack, 0
	.set _ZL19rocblas_copy_kernelIlLi256EPKP19rocblas_complex_numIfES4_EviT1_lT_lT2_lS6_li.has_recursion, 0
	.set _ZL19rocblas_copy_kernelIlLi256EPKP19rocblas_complex_numIfES4_EviT1_lT_lT2_lS6_li.has_indirect_call, 0
	.section	.AMDGPU.csdata,"",@progbits
; Kernel info:
; codeLenInByte = 332
; TotalNumSgprs: 22
; NumVgprs: 9
; ScratchSize: 0
; MemoryBound: 0
; FloatMode: 240
; IeeeMode: 1
; LDSByteSize: 0 bytes/workgroup (compile time only)
; SGPRBlocks: 0
; VGPRBlocks: 0
; NumSGPRsForWavesPerEU: 22
; NumVGPRsForWavesPerEU: 9
; NamedBarCnt: 0
; Occupancy: 16
; WaveLimiterHint : 1
; COMPUTE_PGM_RSRC2:SCRATCH_EN: 0
; COMPUTE_PGM_RSRC2:USER_SGPR: 2
; COMPUTE_PGM_RSRC2:TRAP_HANDLER: 0
; COMPUTE_PGM_RSRC2:TGID_X_EN: 1
; COMPUTE_PGM_RSRC2:TGID_Y_EN: 0
; COMPUTE_PGM_RSRC2:TGID_Z_EN: 1
; COMPUTE_PGM_RSRC2:TIDIG_COMP_CNT: 0
	.section	.text._ZL19rocblas_copy_kernelIiLi256EPKP19rocblas_complex_numIfES4_EviT1_lT_lT2_lS6_li,"axG",@progbits,_ZL19rocblas_copy_kernelIiLi256EPKP19rocblas_complex_numIfES4_EviT1_lT_lT2_lS6_li,comdat
	.globl	_ZL19rocblas_copy_kernelIiLi256EPKP19rocblas_complex_numIfES4_EviT1_lT_lT2_lS6_li ; -- Begin function _ZL19rocblas_copy_kernelIiLi256EPKP19rocblas_complex_numIfES4_EviT1_lT_lT2_lS6_li
	.p2align	8
	.type	_ZL19rocblas_copy_kernelIiLi256EPKP19rocblas_complex_numIfES4_EviT1_lT_lT2_lS6_li,@function
_ZL19rocblas_copy_kernelIiLi256EPKP19rocblas_complex_numIfES4_EviT1_lT_lT2_lS6_li: ; @_ZL19rocblas_copy_kernelIiLi256EPKP19rocblas_complex_numIfES4_EviT1_lT_lT2_lS6_li
; %bb.0:
	s_load_b32 s12, s[0:1], 0x48
	s_bfe_u32 s2, ttmp6, 0x40014
	s_lshr_b32 s3, ttmp7, 16
	s_add_co_i32 s2, s2, 1
	s_bfe_u32 s5, ttmp6, 0x40008
	s_mul_i32 s4, s3, s2
	s_getreg_b32 s2, hwreg(HW_REG_IB_STS2, 6, 4)
	s_add_co_i32 s5, s5, s4
	s_cmp_eq_u32 s2, 0
	s_cselect_b32 s13, s3, s5
	s_wait_kmcnt 0x0
	s_cmp_ge_u32 s13, s12
	s_cbranch_scc1 .LBB21_5
; %bb.1:
	s_clause 0x2
	s_load_b32 s14, s[0:1], 0x0
	s_load_b32 s8, s[0:1], 0x18
	;; [unrolled: 1-line block ×3, first 2 shown]
	s_bfe_u32 s3, ttmp6, 0x4000c
	s_and_b32 s9, ttmp6, 15
	s_add_co_i32 s3, s3, 1
	v_mov_b32_e32 v5, 0
	s_mul_i32 s3, ttmp9, s3
	s_load_b128 s[4:7], s[0:1], 0x8
	s_add_co_i32 s3, s9, s3
	s_wait_kmcnt 0x0
	s_ashr_i32 s15, s14, 31
	s_ashr_i32 s9, s8, 31
	;; [unrolled: 1-line block ×3, first 2 shown]
	s_cmp_eq_u32 s2, 0
	s_cselect_b32 s2, ttmp9, s3
	s_delay_alu instid0(SALU_CYCLE_1) | instskip(NEXT) | instid1(VALU_DEP_1)
	v_lshl_or_b32 v4, s2, 8, v0
	v_mul_u64_e32 v[0:1], s[8:9], v[4:5]
	v_mul_u64_e32 v[2:3], s[10:11], v[4:5]
	s_load_b128 s[8:11], s[0:1], 0x28
	s_lshl_b64 s[2:3], s[6:7], 3
	v_cmp_gt_i64_e32 vcc_lo, s[14:15], v[4:5]
	s_wait_kmcnt 0x0
	s_lshl_b64 s[0:1], s[10:11], 3
	s_branch .LBB21_3
.LBB21_2:                               ;   in Loop: Header=BB21_3 Depth=1
	s_wait_xcnt 0x0
	s_or_b32 exec_lo, exec_lo, s6
	s_add_co_i32 s13, s13, 0x10000
	s_delay_alu instid0(SALU_CYCLE_1)
	s_cmp_lt_u32 s13, s12
	s_cbranch_scc0 .LBB21_5
.LBB21_3:                               ; =>This Inner Loop Header: Depth=1
	s_and_saveexec_b32 s6, vcc_lo
	s_cbranch_execz .LBB21_2
; %bb.4:                                ;   in Loop: Header=BB21_3 Depth=1
	v_mov_b32_e32 v8, s13
	s_clause 0x1
	global_load_b64 v[4:5], v8, s[4:5] scale_offset
	global_load_b64 v[6:7], v8, s[8:9] scale_offset
	s_wait_loadcnt 0x1
	v_add_nc_u64_e32 v[4:5], s[2:3], v[4:5]
	s_wait_loadcnt 0x0
	v_add_nc_u64_e32 v[6:7], s[0:1], v[6:7]
	s_delay_alu instid0(VALU_DEP_2) | instskip(NEXT) | instid1(VALU_DEP_2)
	v_lshl_add_u64 v[4:5], v[0:1], 3, v[4:5]
	v_lshl_add_u64 v[6:7], v[2:3], 3, v[6:7]
	flat_load_b64 v[4:5], v[4:5]
	s_wait_loadcnt_dscnt 0x0
	flat_store_b64 v[6:7], v[4:5]
	s_branch .LBB21_2
.LBB21_5:
	s_endpgm
	.section	.rodata,"a",@progbits
	.p2align	6, 0x0
	.amdhsa_kernel _ZL19rocblas_copy_kernelIiLi256EPKP19rocblas_complex_numIfES4_EviT1_lT_lT2_lS6_li
		.amdhsa_group_segment_fixed_size 0
		.amdhsa_private_segment_fixed_size 0
		.amdhsa_kernarg_size 76
		.amdhsa_user_sgpr_count 2
		.amdhsa_user_sgpr_dispatch_ptr 0
		.amdhsa_user_sgpr_queue_ptr 0
		.amdhsa_user_sgpr_kernarg_segment_ptr 1
		.amdhsa_user_sgpr_dispatch_id 0
		.amdhsa_user_sgpr_kernarg_preload_length 0
		.amdhsa_user_sgpr_kernarg_preload_offset 0
		.amdhsa_user_sgpr_private_segment_size 0
		.amdhsa_wavefront_size32 1
		.amdhsa_uses_dynamic_stack 0
		.amdhsa_enable_private_segment 0
		.amdhsa_system_sgpr_workgroup_id_x 1
		.amdhsa_system_sgpr_workgroup_id_y 0
		.amdhsa_system_sgpr_workgroup_id_z 1
		.amdhsa_system_sgpr_workgroup_info 0
		.amdhsa_system_vgpr_workitem_id 0
		.amdhsa_next_free_vgpr 9
		.amdhsa_next_free_sgpr 16
		.amdhsa_named_barrier_count 0
		.amdhsa_reserve_vcc 1
		.amdhsa_float_round_mode_32 0
		.amdhsa_float_round_mode_16_64 0
		.amdhsa_float_denorm_mode_32 3
		.amdhsa_float_denorm_mode_16_64 3
		.amdhsa_fp16_overflow 0
		.amdhsa_memory_ordered 1
		.amdhsa_forward_progress 1
		.amdhsa_inst_pref_size 3
		.amdhsa_round_robin_scheduling 0
		.amdhsa_exception_fp_ieee_invalid_op 0
		.amdhsa_exception_fp_denorm_src 0
		.amdhsa_exception_fp_ieee_div_zero 0
		.amdhsa_exception_fp_ieee_overflow 0
		.amdhsa_exception_fp_ieee_underflow 0
		.amdhsa_exception_fp_ieee_inexact 0
		.amdhsa_exception_int_div_zero 0
	.end_amdhsa_kernel
	.section	.text._ZL19rocblas_copy_kernelIiLi256EPKP19rocblas_complex_numIfES4_EviT1_lT_lT2_lS6_li,"axG",@progbits,_ZL19rocblas_copy_kernelIiLi256EPKP19rocblas_complex_numIfES4_EviT1_lT_lT2_lS6_li,comdat
.Lfunc_end21:
	.size	_ZL19rocblas_copy_kernelIiLi256EPKP19rocblas_complex_numIfES4_EviT1_lT_lT2_lS6_li, .Lfunc_end21-_ZL19rocblas_copy_kernelIiLi256EPKP19rocblas_complex_numIfES4_EviT1_lT_lT2_lS6_li
                                        ; -- End function
	.set _ZL19rocblas_copy_kernelIiLi256EPKP19rocblas_complex_numIfES4_EviT1_lT_lT2_lS6_li.num_vgpr, 9
	.set _ZL19rocblas_copy_kernelIiLi256EPKP19rocblas_complex_numIfES4_EviT1_lT_lT2_lS6_li.num_agpr, 0
	.set _ZL19rocblas_copy_kernelIiLi256EPKP19rocblas_complex_numIfES4_EviT1_lT_lT2_lS6_li.numbered_sgpr, 16
	.set _ZL19rocblas_copy_kernelIiLi256EPKP19rocblas_complex_numIfES4_EviT1_lT_lT2_lS6_li.num_named_barrier, 0
	.set _ZL19rocblas_copy_kernelIiLi256EPKP19rocblas_complex_numIfES4_EviT1_lT_lT2_lS6_li.private_seg_size, 0
	.set _ZL19rocblas_copy_kernelIiLi256EPKP19rocblas_complex_numIfES4_EviT1_lT_lT2_lS6_li.uses_vcc, 1
	.set _ZL19rocblas_copy_kernelIiLi256EPKP19rocblas_complex_numIfES4_EviT1_lT_lT2_lS6_li.uses_flat_scratch, 0
	.set _ZL19rocblas_copy_kernelIiLi256EPKP19rocblas_complex_numIfES4_EviT1_lT_lT2_lS6_li.has_dyn_sized_stack, 0
	.set _ZL19rocblas_copy_kernelIiLi256EPKP19rocblas_complex_numIfES4_EviT1_lT_lT2_lS6_li.has_recursion, 0
	.set _ZL19rocblas_copy_kernelIiLi256EPKP19rocblas_complex_numIfES4_EviT1_lT_lT2_lS6_li.has_indirect_call, 0
	.section	.AMDGPU.csdata,"",@progbits
; Kernel info:
; codeLenInByte = 340
; TotalNumSgprs: 18
; NumVgprs: 9
; ScratchSize: 0
; MemoryBound: 0
; FloatMode: 240
; IeeeMode: 1
; LDSByteSize: 0 bytes/workgroup (compile time only)
; SGPRBlocks: 0
; VGPRBlocks: 0
; NumSGPRsForWavesPerEU: 18
; NumVGPRsForWavesPerEU: 9
; NamedBarCnt: 0
; Occupancy: 16
; WaveLimiterHint : 1
; COMPUTE_PGM_RSRC2:SCRATCH_EN: 0
; COMPUTE_PGM_RSRC2:USER_SGPR: 2
; COMPUTE_PGM_RSRC2:TRAP_HANDLER: 0
; COMPUTE_PGM_RSRC2:TGID_X_EN: 1
; COMPUTE_PGM_RSRC2:TGID_Y_EN: 0
; COMPUTE_PGM_RSRC2:TGID_Z_EN: 1
; COMPUTE_PGM_RSRC2:TIDIG_COMP_CNT: 0
	.section	.text._ZL20rocblas_tbmvx_kernelILi64ELi16EPKPK19rocblas_complex_numIfEPKPS1_Ev18rocblas_operation_bbiiT1_lllSA_T2_llli,"axG",@progbits,_ZL20rocblas_tbmvx_kernelILi64ELi16EPKPK19rocblas_complex_numIfEPKPS1_Ev18rocblas_operation_bbiiT1_lllSA_T2_llli,comdat
	.globl	_ZL20rocblas_tbmvx_kernelILi64ELi16EPKPK19rocblas_complex_numIfEPKPS1_Ev18rocblas_operation_bbiiT1_lllSA_T2_llli ; -- Begin function _ZL20rocblas_tbmvx_kernelILi64ELi16EPKPK19rocblas_complex_numIfEPKPS1_Ev18rocblas_operation_bbiiT1_lllSA_T2_llli
	.p2align	8
	.type	_ZL20rocblas_tbmvx_kernelILi64ELi16EPKPK19rocblas_complex_numIfEPKPS1_Ev18rocblas_operation_bbiiT1_lllSA_T2_llli,@function
_ZL20rocblas_tbmvx_kernelILi64ELi16EPKPK19rocblas_complex_numIfEPKPS1_Ev18rocblas_operation_bbiiT1_lllSA_T2_llli: ; @_ZL20rocblas_tbmvx_kernelILi64ELi16EPKPK19rocblas_complex_numIfEPKPS1_Ev18rocblas_operation_bbiiT1_lllSA_T2_llli
; %bb.0:
	s_clause 0x1
	s_load_b64 s[4:5], s[0:1], 0x6c
	s_load_b32 s3, s[0:1], 0x58
	s_bfe_u32 s2, ttmp6, 0x40014
	s_lshr_b32 s6, ttmp7, 16
	s_add_co_i32 s2, s2, 1
	s_bfe_u32 s7, ttmp6, 0x40008
	s_mul_i32 s8, s6, s2
	s_getreg_b32 s2, hwreg(HW_REG_IB_STS2, 6, 4)
	s_add_co_i32 s7, s7, s8
	s_wait_kmcnt 0x0
	s_lshr_b32 s8, s4, 16
	s_and_b32 s4, s4, 0xffff
	s_and_b32 s5, s5, 0xffff
	s_mul_i32 s8, s8, s4
	s_cmp_eq_u32 s2, 0
	s_mul_i32 s8, s8, s5
	s_cselect_b32 s19, s6, s7
	s_cmp_lg_u32 s8, 0x400
	s_cselect_b32 s5, -1, 0
	s_cmp_ge_u32 s19, s3
	s_cselect_b32 s6, -1, 0
	s_delay_alu instid0(SALU_CYCLE_1) | instskip(NEXT) | instid1(SALU_CYCLE_1)
	s_or_b32 s5, s5, s6
	s_and_b32 vcc_lo, exec_lo, s5
	s_cbranch_vccnz .LBB22_78
; %bb.1:
	s_clause 0x1
	s_load_b64 s[22:23], s[0:1], 0x0
	s_load_b96 s[16:18], s[0:1], 0x4
	v_and_b32_e32 v1, 0x3ff, v0
	v_bfe_u32 v0, v0, 10, 10
	s_clause 0x1
	s_load_b64 s[20:21], s[0:1], 0x20
	s_load_b128 s[12:15], s[0:1], 0x10
	v_mov_b32_e32 v3, 0
	v_mad_u32_u24 v2, v0, s4, v1
	s_delay_alu instid0(VALU_DEP_2) | instskip(NEXT) | instid1(VALU_DEP_2)
	v_dual_mov_b32 v7, v3 :: v_dual_mov_b32 v9, v3
	v_dual_lshrrev_b32 v6, 6, v2 :: v_dual_bitop2_b32 v14, 63, v2 bitop3:0x40
	v_cmp_gt_u32_e32 vcc_lo, 64, v2
	s_wait_kmcnt 0x0
	s_bitcmp1_b32 s23, 0
	s_cselect_b32 s29, -1, 0
	s_delay_alu instid0(SALU_CYCLE_1)
	s_and_b32 s5, s29, exec_lo
	s_cselect_b32 s23, s18, 0
	s_xor_b32 s24, s29, -1
	s_bitcmp1_b32 s16, 8
	v_mul_u64_e32 v[16:17], s[20:21], v[6:7]
	s_cselect_b32 s27, -1, 0
	s_bfe_u32 s5, ttmp6, 0x4000c
	s_and_b32 s4, ttmp6, 15
	s_add_co_i32 s5, s5, 1
	s_delay_alu instid0(SALU_CYCLE_1) | instskip(NEXT) | instid1(SALU_CYCLE_1)
	s_mul_i32 s5, ttmp9, s5
	s_add_co_i32 s4, s4, s5
	s_cmp_eq_u32 s2, 0
	s_cselect_b32 s2, ttmp9, s4
	s_load_b256 s[4:11], s[0:1], 0x30
	s_lshl_b32 s30, s2, 6
	s_wait_xcnt 0x0
	v_cmp_gt_i64_e64 s1, s[20:21], v[6:7]
	v_or_b32_e32 v0, s30, v14
	v_dual_add_nc_u32 v12, s30, v2 :: v_dual_lshlrev_b32 v15, 3, v2
	v_cmp_ge_i32_e64 s2, s18, v6
	s_cmp_lg_u32 s22, 0x6f
	v_ashrrev_i32_e32 v1, 31, v0
	v_ashrrev_i32_e32 v13, 31, v12
	s_cselect_b32 s16, -1, 0
	s_cmp_lg_u32 s22, 0x71
	v_dual_lshlrev_b32 v8, 3, v6 :: v_dual_sub_nc_u32 v37, s18, v0
	v_mul_u64_e32 v[4:5], s[20:21], v[0:1]
	s_cselect_b32 s25, -1, 0
	v_add3_u32 v2, s23, s30, v14
	v_cmp_gt_i32_e64 s0, s17, v6
	s_and_b32 s26, s2, s1
	s_and_b32 s1, s29, s27
	s_wait_kmcnt 0x0
	v_mul_u64_e32 v[10:11], s[10:11], v[12:13]
	s_xor_b32 s27, s27, -1
	s_xor_b32 s28, s1, -1
	s_cmp_lg_u32 s18, 0
	v_cmp_gt_i32_e64 s2, s17, v12
	s_cselect_b32 s31, -1, 0
	s_lshl_b64 s[10:11], s[14:15], 3
	v_cmp_gt_i32_e64 s1, s17, v0
	v_xad_u32 v36, v0, -1, s17
	v_subrev_nc_u32_e32 v14, s18, v0
	s_mov_b32 s22, s18
	s_ashr_i32 s23, s18, 31
	s_and_b32 s14, s29, s31
	s_and_b32 s29, vcc_lo, s2
	s_nor_b32 s30, s14, s27
	s_lshl_b64 s[14:15], s[20:21], 7
	s_lshl_b64 s[22:23], s[22:23], 3
	;; [unrolled: 1-line block ×3, first 2 shown]
	v_lshl_add_u64 v[16:17], v[16:17], 3, s[10:11]
	v_sub_nc_u32_e32 v38, v2, v6
	v_lshl_add_u64 v[18:19], v[4:5], 3, s[10:11]
	s_delay_alu instid0(VALU_DEP_1) | instskip(NEXT) | instid1(VALU_DEP_1)
	v_add_nc_u64_e32 v[12:13], v[18:19], v[8:9]
	v_or_b32_e32 v12, 4, v12
	s_branch .LBB22_3
.LBB22_2:                               ;   in Loop: Header=BB22_3 Depth=1
	s_wait_xcnt 0x0
	s_or_b32 exec_lo, exec_lo, s2
	s_add_co_i32 s19, s19, 0x10000
	s_delay_alu instid0(SALU_CYCLE_1)
	s_cmp_lt_u32 s19, s3
	s_cbranch_scc0 .LBB22_78
.LBB22_3:                               ; =>This Loop Header: Depth=1
                                        ;     Child Loop BB22_11 Depth 2
                                        ;     Child Loop BB22_55 Depth 2
	v_mov_b32_e32 v2, s19
	s_and_b32 vcc_lo, exec_lo, s16
	s_mov_b32 s2, -1
                                        ; implicit-def: $vgpr20_vgpr21
	s_clause 0x2
	global_load_b64 v[22:23], v2, s[12:13] scale_offset
	global_load_b64 v[24:25], v2, s[4:5] scale_offset
	;; [unrolled: 1-line block ×3, first 2 shown]
	s_cbranch_vccz .LBB22_50
; %bb.4:                                ;   in Loop: Header=BB22_3 Depth=1
	v_mov_b64_e32 v[20:21], 0
	s_wait_xcnt 0x0
	s_and_saveexec_b32 s31, s26
	s_cbranch_execz .LBB22_49
; %bb.5:                                ;   in Loop: Header=BB22_3 Depth=1
	s_wait_loadcnt 0x2
	v_add_nc_u64_e32 v[30:31], s[10:11], v[22:23]
	v_add_nc_u64_e32 v[28:29], v[22:23], v[12:13]
	v_mov_b64_e32 v[20:21], 0
	v_mov_b64_e32 v[32:33], v[6:7]
	s_wait_loadcnt 0x1
	v_lshl_add_u64 v[26:27], v[0:1], 3, v[24:25]
	s_mov_b32 s33, 0
	v_lshl_add_u64 v[30:31], v[4:5], 3, v[30:31]
	s_branch .LBB22_11
.LBB22_6:                               ;   in Loop: Header=BB22_11 Depth=2
	s_delay_alu instid0(VALU_DEP_1)
	v_mov_b64_e32 v[20:21], v[34:35]
.LBB22_7:                               ;   in Loop: Header=BB22_11 Depth=2
	s_wait_xcnt 0x0
	s_or_b32 exec_lo, exec_lo, s35
.LBB22_8:                               ;   in Loop: Header=BB22_11 Depth=2
	s_delay_alu instid0(SALU_CYCLE_1) | instskip(NEXT) | instid1(VALU_DEP_1)
	s_or_b32 exec_lo, exec_lo, s2
	v_mov_b64_e32 v[34:35], v[20:21]
.LBB22_9:                               ;   in Loop: Header=BB22_11 Depth=2
	s_delay_alu instid0(VALU_DEP_1)
	v_mov_b64_e32 v[20:21], v[34:35]
.LBB22_10:                              ;   in Loop: Header=BB22_11 Depth=2
	s_or_b32 exec_lo, exec_lo, s34
	v_add_nc_u64_e32 v[32:33], 16, v[32:33]
	v_add_nc_u64_e32 v[28:29], 0x80, v[28:29]
	s_delay_alu instid0(VALU_DEP_2) | instskip(SKIP_1) | instid1(VALU_DEP_2)
	v_mov_b32_e32 v2, v32
	v_cmp_lt_i32_e64 s2, s18, v32
	v_cmp_le_u64_e32 vcc_lo, s[20:21], v[2:3]
	s_or_b32 s2, s2, vcc_lo
	s_delay_alu instid0(SALU_CYCLE_1) | instskip(NEXT) | instid1(SALU_CYCLE_1)
	s_and_b32 s2, exec_lo, s2
	s_or_b32 s33, s2, s33
	s_delay_alu instid0(SALU_CYCLE_1)
	s_and_not1_b32 exec_lo, exec_lo, s33
	s_cbranch_execz .LBB22_48
.LBB22_11:                              ;   Parent Loop BB22_3 Depth=1
                                        ; =>  This Inner Loop Header: Depth=2
	s_and_saveexec_b32 s34, s1
	s_cbranch_execz .LBB22_10
; %bb.12:                               ;   in Loop: Header=BB22_11 Depth=2
	s_and_b32 vcc_lo, exec_lo, s24
	s_mov_b32 s2, -1
                                        ; implicit-def: $vgpr34_vgpr35
	s_cbranch_vccz .LBB22_31
; %bb.13:                               ;   in Loop: Header=BB22_11 Depth=2
	v_cmp_eq_u64_e32 vcc_lo, 0, v[32:33]
	v_cmp_lt_i32_e64 s2, v36, v32
                                        ; implicit-def: $vgpr34_vgpr35
	s_or_b32 s2, vcc_lo, s2
	s_delay_alu instid0(SALU_CYCLE_1) | instskip(NEXT) | instid1(SALU_CYCLE_1)
	s_and_saveexec_b32 s35, s2
	s_xor_b32 s2, exec_lo, s35
	s_cbranch_execz .LBB22_24
; %bb.14:                               ;   in Loop: Header=BB22_11 Depth=2
	v_mov_b64_e32 v[34:35], v[20:21]
	s_mov_b32 s35, exec_lo
	v_cmpx_eq_u64_e32 0, v[32:33]
	s_cbranch_execz .LBB22_23
; %bb.15:                               ;   in Loop: Header=BB22_11 Depth=2
	s_and_b32 vcc_lo, exec_lo, s27
	s_mov_b32 s36, -1
                                        ; implicit-def: $vgpr34_vgpr35
	s_cbranch_vccz .LBB22_21
; %bb.16:                               ;   in Loop: Header=BB22_11 Depth=2
	s_and_b32 vcc_lo, exec_lo, s25
                                        ; implicit-def: $vgpr34
                                        ; implicit-def: $vgpr2
	s_cbranch_vccz .LBB22_18
; %bb.17:                               ;   in Loop: Header=BB22_11 Depth=2
	flat_load_b64 v[34:35], v[30:31]
	s_mov_b32 s36, 0
	s_wait_loadcnt_dscnt 0x0
	v_mov_b32_e32 v2, v35
.LBB22_18:                              ;   in Loop: Header=BB22_11 Depth=2
	s_and_not1_b32 vcc_lo, exec_lo, s36
	s_cbranch_vccnz .LBB22_20
; %bb.19:                               ;   in Loop: Header=BB22_11 Depth=2
	flat_load_b64 v[34:35], v[30:31]
	s_wait_loadcnt_dscnt 0x0
	v_xor_b32_e32 v2, 0x80000000, v35
.LBB22_20:                              ;   in Loop: Header=BB22_11 Depth=2
	flat_load_b64 v[40:41], v[26:27]
	s_mov_b32 s36, 0
	s_wait_loadcnt_dscnt 0x0
	v_pk_mul_f32 v[42:43], v[2:3], v[40:41] op_sel:[0,1] op_sel_hi:[0,0]
	s_delay_alu instid0(VALU_DEP_1) | instskip(SKIP_1) | instid1(VALU_DEP_2)
	v_pk_fma_f32 v[44:45], v[40:41], v[34:35], v[42:43] op_sel_hi:[1,0,1]
	v_pk_fma_f32 v[34:35], v[40:41], v[34:35], v[42:43] neg_lo:[0,0,1] neg_hi:[0,0,1]
	v_mov_b32_e32 v35, v45
	s_delay_alu instid0(VALU_DEP_1)
	v_pk_add_f32 v[34:35], v[20:21], v[34:35]
.LBB22_21:                              ;   in Loop: Header=BB22_11 Depth=2
	s_and_b32 vcc_lo, exec_lo, s36
	s_cbranch_vccz .LBB22_23
; %bb.22:                               ;   in Loop: Header=BB22_11 Depth=2
	flat_load_b64 v[34:35], v[26:27]
	s_wait_loadcnt_dscnt 0x0
	v_pk_add_f32 v[34:35], v[20:21], v[34:35]
.LBB22_23:                              ;   in Loop: Header=BB22_11 Depth=2
	s_wait_xcnt 0x0
	s_or_b32 exec_lo, exec_lo, s35
.LBB22_24:                              ;   in Loop: Header=BB22_11 Depth=2
	s_and_not1_saveexec_b32 s2, s2
	s_cbranch_execz .LBB22_30
; %bb.25:                               ;   in Loop: Header=BB22_11 Depth=2
	s_and_b32 vcc_lo, exec_lo, s25
	s_mov_b32 s35, -1
                                        ; implicit-def: $vgpr34
                                        ; implicit-def: $vgpr2
	s_cbranch_vccz .LBB22_27
; %bb.26:                               ;   in Loop: Header=BB22_11 Depth=2
	flat_load_b64 v[34:35], v[28:29] offset:-4
	s_mov_b32 s35, 0
	s_wait_loadcnt_dscnt 0x0
	v_mov_b32_e32 v2, v35
.LBB22_27:                              ;   in Loop: Header=BB22_11 Depth=2
	s_and_not1_b32 vcc_lo, exec_lo, s35
	s_cbranch_vccnz .LBB22_29
; %bb.28:                               ;   in Loop: Header=BB22_11 Depth=2
	flat_load_b64 v[34:35], v[28:29] offset:-4
	s_wait_loadcnt_dscnt 0x0
	v_xor_b32_e32 v2, 0x80000000, v35
.LBB22_29:                              ;   in Loop: Header=BB22_11 Depth=2
	v_add_nc_u32_e32 v35, v0, v32
	v_readfirstlane_b32 s36, v24
	v_readfirstlane_b32 s37, v25
	flat_load_b64 v[40:41], v35, s[36:37] scale_offset
	s_wait_loadcnt_dscnt 0x0
	v_pk_mul_f32 v[42:43], v[2:3], v[40:41] op_sel:[0,1] op_sel_hi:[0,0]
	s_delay_alu instid0(VALU_DEP_1) | instskip(SKIP_2) | instid1(VALU_DEP_2)
	v_pk_fma_f32 v[44:45], v[40:41], v[34:35], v[42:43] op_sel_hi:[1,0,1]
	s_wait_xcnt 0x0
	v_pk_fma_f32 v[34:35], v[40:41], v[34:35], v[42:43] neg_lo:[0,0,1] neg_hi:[0,0,1]
	v_mov_b32_e32 v35, v45
	s_delay_alu instid0(VALU_DEP_1)
	v_pk_add_f32 v[34:35], v[20:21], v[34:35]
.LBB22_30:                              ;   in Loop: Header=BB22_11 Depth=2
	s_or_b32 exec_lo, exec_lo, s2
	s_mov_b32 s2, 0
.LBB22_31:                              ;   in Loop: Header=BB22_11 Depth=2
	s_delay_alu instid0(SALU_CYCLE_1)
	s_and_not1_b32 vcc_lo, exec_lo, s2
	s_cbranch_vccnz .LBB22_9
; %bb.32:                               ;   in Loop: Header=BB22_11 Depth=2
	v_cmp_gt_i32_e32 vcc_lo, s18, v32
	v_cmp_le_i32_e64 s2, v37, v32
	s_and_b32 s2, vcc_lo, s2
	s_delay_alu instid0(SALU_CYCLE_1) | instskip(NEXT) | instid1(SALU_CYCLE_1)
	s_and_saveexec_b32 s35, s2
	s_xor_b32 s2, exec_lo, s35
	s_cbranch_execz .LBB22_38
; %bb.33:                               ;   in Loop: Header=BB22_11 Depth=2
	s_and_b32 vcc_lo, exec_lo, s25
	s_mov_b32 s35, -1
                                        ; implicit-def: $vgpr2
                                        ; implicit-def: $vgpr34
	s_cbranch_vccz .LBB22_35
; %bb.34:                               ;   in Loop: Header=BB22_11 Depth=2
	flat_load_b64 v[34:35], v[28:29] offset:-4
	s_mov_b32 s35, 0
	s_wait_loadcnt_dscnt 0x0
	v_mov_b32_e32 v2, v35
.LBB22_35:                              ;   in Loop: Header=BB22_11 Depth=2
	s_and_not1_b32 vcc_lo, exec_lo, s35
	s_cbranch_vccnz .LBB22_37
; %bb.36:                               ;   in Loop: Header=BB22_11 Depth=2
	flat_load_b64 v[34:35], v[28:29] offset:-4
	s_wait_loadcnt_dscnt 0x0
	v_xor_b32_e32 v2, 0x80000000, v35
.LBB22_37:                              ;   in Loop: Header=BB22_11 Depth=2
	v_add_nc_u32_e32 v35, v14, v32
	v_readfirstlane_b32 s36, v24
	v_readfirstlane_b32 s37, v25
	flat_load_b64 v[40:41], v35, s[36:37] scale_offset
	s_wait_loadcnt_dscnt 0x0
	v_pk_mul_f32 v[42:43], v[2:3], v[40:41] op_sel:[0,1] op_sel_hi:[0,0]
	s_delay_alu instid0(VALU_DEP_1) | instskip(SKIP_2) | instid1(VALU_DEP_2)
	v_pk_fma_f32 v[44:45], v[40:41], v[34:35], v[42:43] op_sel_hi:[1,0,1]
	s_wait_xcnt 0x0
	v_pk_fma_f32 v[34:35], v[40:41], v[34:35], v[42:43] neg_lo:[0,0,1] neg_hi:[0,0,1]
	v_mov_b32_e32 v35, v45
	s_delay_alu instid0(VALU_DEP_1)
	v_pk_add_f32 v[20:21], v[20:21], v[34:35]
.LBB22_38:                              ;   in Loop: Header=BB22_11 Depth=2
	s_and_not1_saveexec_b32 s2, s2
	s_cbranch_execz .LBB22_8
; %bb.39:                               ;   in Loop: Header=BB22_11 Depth=2
	s_mov_b32 s35, exec_lo
	v_cmpx_eq_u32_e64 s18, v32
	s_cbranch_execz .LBB22_7
; %bb.40:                               ;   in Loop: Header=BB22_11 Depth=2
	s_and_b32 vcc_lo, exec_lo, s27
	s_mov_b32 s36, -1
                                        ; implicit-def: $vgpr34_vgpr35
	s_cbranch_vccz .LBB22_46
; %bb.41:                               ;   in Loop: Header=BB22_11 Depth=2
	s_and_b32 vcc_lo, exec_lo, s25
                                        ; implicit-def: $vgpr34
                                        ; implicit-def: $vgpr2
	s_cbranch_vccz .LBB22_43
; %bb.42:                               ;   in Loop: Header=BB22_11 Depth=2
	flat_load_b64 v[34:35], v[28:29] offset:-4
	s_mov_b32 s36, 0
	s_wait_loadcnt_dscnt 0x0
	v_mov_b32_e32 v2, v35
.LBB22_43:                              ;   in Loop: Header=BB22_11 Depth=2
	s_and_not1_b32 vcc_lo, exec_lo, s36
	s_cbranch_vccnz .LBB22_45
; %bb.44:                               ;   in Loop: Header=BB22_11 Depth=2
	flat_load_b64 v[34:35], v[28:29] offset:-4
	s_wait_loadcnt_dscnt 0x0
	v_xor_b32_e32 v2, 0x80000000, v35
.LBB22_45:                              ;   in Loop: Header=BB22_11 Depth=2
	flat_load_b64 v[40:41], v[26:27]
	s_mov_b32 s36, 0
	s_wait_loadcnt_dscnt 0x0
	v_pk_mul_f32 v[42:43], v[2:3], v[40:41] op_sel:[0,1] op_sel_hi:[0,0]
	s_delay_alu instid0(VALU_DEP_1) | instskip(SKIP_1) | instid1(VALU_DEP_2)
	v_pk_fma_f32 v[44:45], v[40:41], v[34:35], v[42:43] op_sel_hi:[1,0,1]
	v_pk_fma_f32 v[34:35], v[40:41], v[34:35], v[42:43] neg_lo:[0,0,1] neg_hi:[0,0,1]
	v_mov_b32_e32 v35, v45
	s_delay_alu instid0(VALU_DEP_1)
	v_pk_add_f32 v[34:35], v[20:21], v[34:35]
.LBB22_46:                              ;   in Loop: Header=BB22_11 Depth=2
	s_and_b32 vcc_lo, exec_lo, s36
	s_cbranch_vccz .LBB22_6
; %bb.47:                               ;   in Loop: Header=BB22_11 Depth=2
	flat_load_b64 v[34:35], v[26:27]
	s_wait_loadcnt_dscnt 0x0
	v_pk_add_f32 v[34:35], v[20:21], v[34:35]
	s_branch .LBB22_6
.LBB22_48:                              ;   in Loop: Header=BB22_3 Depth=1
	s_or_b32 exec_lo, exec_lo, s33
.LBB22_49:                              ;   in Loop: Header=BB22_3 Depth=1
	s_delay_alu instid0(SALU_CYCLE_1)
	s_or_b32 exec_lo, exec_lo, s31
	s_mov_b32 s2, 0
.LBB22_50:                              ;   in Loop: Header=BB22_3 Depth=1
	s_delay_alu instid0(SALU_CYCLE_1)
	s_and_not1_b32 vcc_lo, exec_lo, s2
	s_cbranch_vccnz .LBB22_76
; %bb.51:                               ;   in Loop: Header=BB22_3 Depth=1
	v_mov_b64_e32 v[20:21], 0
	s_wait_xcnt 0x0
	s_and_saveexec_b32 s31, s0
	s_cbranch_execz .LBB22_75
; %bb.52:                               ;   in Loop: Header=BB22_3 Depth=1
	s_wait_loadcnt 0x1
	v_add_nc_u64_e32 v[24:25], v[24:25], v[8:9]
	v_add_nc_u64_e32 v[22:23], v[22:23], v[16:17]
	v_mov_b64_e32 v[20:21], 0
	v_dual_mov_b32 v2, v38 :: v_dual_mov_b32 v28, v6
	s_mov_b32 s33, 0
	s_branch .LBB22_55
.LBB22_53:                              ;   in Loop: Header=BB22_55 Depth=2
	s_wait_xcnt 0x0
	s_or_b32 exec_lo, exec_lo, s2
.LBB22_54:                              ;   in Loop: Header=BB22_55 Depth=2
	s_delay_alu instid0(SALU_CYCLE_1) | instskip(SKIP_3) | instid1(VALU_DEP_3)
	s_or_b32 exec_lo, exec_lo, s34
	v_dual_add_nc_u32 v28, 16, v28 :: v_dual_add_nc_u32 v2, -16, v2
	v_add_nc_u64_e32 v[24:25], 0x80, v[24:25]
	v_add_nc_u64_e32 v[22:23], s[14:15], v[22:23]
	v_cmp_le_i32_e32 vcc_lo, s17, v28
	s_or_b32 s33, vcc_lo, s33
	s_delay_alu instid0(SALU_CYCLE_1)
	s_and_not1_b32 exec_lo, exec_lo, s33
	s_cbranch_execz .LBB22_74
.LBB22_55:                              ;   Parent Loop BB22_3 Depth=1
                                        ; =>  This Inner Loop Header: Depth=2
	s_and_saveexec_b32 s34, s1
	s_cbranch_execz .LBB22_54
; %bb.56:                               ;   in Loop: Header=BB22_55 Depth=2
	v_cmp_le_i32_e32 vcc_lo, s18, v2
	v_cmp_gt_i32_e64 s2, 1, v2
	s_or_b32 s2, vcc_lo, s2
	s_delay_alu instid0(SALU_CYCLE_1) | instskip(NEXT) | instid1(SALU_CYCLE_1)
	s_and_saveexec_b32 s35, s2
	s_xor_b32 s2, exec_lo, s35
	s_cbranch_execz .LBB22_72
; %bb.57:                               ;   in Loop: Header=BB22_55 Depth=2
	s_mov_b32 s35, exec_lo
	v_cmpx_ne_u32_e32 0, v2
	s_xor_b32 s35, exec_lo, s35
	s_cbranch_execz .LBB22_65
; %bb.58:                               ;   in Loop: Header=BB22_55 Depth=2
	s_mov_b32 s36, exec_lo
	v_cmpx_eq_u32_e64 s18, v2
	s_cbranch_execz .LBB22_64
; %bb.59:                               ;   in Loop: Header=BB22_55 Depth=2
	s_and_b32 vcc_lo, exec_lo, s28
	s_mov_b32 s37, -1
                                        ; implicit-def: $vgpr26_vgpr27
	s_cbranch_vccz .LBB22_61
; %bb.60:                               ;   in Loop: Header=BB22_55 Depth=2
	v_add_nc_u64_e32 v[26:27], s[22:23], v[22:23]
	s_mov_b32 s37, 0
	flat_load_b64 v[30:31], v[26:27]
	flat_load_b64 v[32:33], v[24:25]
	s_wait_loadcnt_dscnt 0x0
	s_wait_xcnt 0x1
	v_pk_mul_f32 v[26:27], v[32:33], v[30:31] op_sel:[1,1] op_sel_hi:[0,1]
	s_delay_alu instid0(VALU_DEP_1) | instskip(SKIP_1) | instid1(VALU_DEP_2)
	v_pk_fma_f32 v[34:35], v[32:33], v[30:31], v[26:27] op_sel_hi:[1,0,1]
	v_pk_fma_f32 v[26:27], v[32:33], v[30:31], v[26:27] neg_lo:[0,0,1] neg_hi:[0,0,1]
	v_mov_b32_e32 v27, v35
	s_delay_alu instid0(VALU_DEP_1)
	v_pk_add_f32 v[26:27], v[20:21], v[26:27]
.LBB22_61:                              ;   in Loop: Header=BB22_55 Depth=2
	s_and_not1_b32 vcc_lo, exec_lo, s37
	s_cbranch_vccnz .LBB22_63
; %bb.62:                               ;   in Loop: Header=BB22_55 Depth=2
	flat_load_b64 v[26:27], v[24:25]
	s_wait_loadcnt_dscnt 0x0
	v_pk_add_f32 v[26:27], v[20:21], v[26:27]
.LBB22_63:                              ;   in Loop: Header=BB22_55 Depth=2
	s_delay_alu instid0(VALU_DEP_1)
	v_mov_b64_e32 v[20:21], v[26:27]
.LBB22_64:                              ;   in Loop: Header=BB22_55 Depth=2
	s_wait_xcnt 0x0
	s_or_b32 exec_lo, exec_lo, s36
.LBB22_65:                              ;   in Loop: Header=BB22_55 Depth=2
	s_and_not1_saveexec_b32 s35, s35
	s_cbranch_execz .LBB22_71
; %bb.66:                               ;   in Loop: Header=BB22_55 Depth=2
	s_and_not1_b32 vcc_lo, exec_lo, s30
	s_mov_b32 s36, -1
                                        ; implicit-def: $vgpr26_vgpr27
	s_cbranch_vccnz .LBB22_68
; %bb.67:                               ;   in Loop: Header=BB22_55 Depth=2
	flat_load_b64 v[26:27], v[24:25]
	s_mov_b32 s36, 0
	s_wait_loadcnt_dscnt 0x0
	v_pk_add_f32 v[26:27], v[20:21], v[26:27]
.LBB22_68:                              ;   in Loop: Header=BB22_55 Depth=2
	s_and_not1_b32 vcc_lo, exec_lo, s36
	s_cbranch_vccnz .LBB22_70
; %bb.69:                               ;   in Loop: Header=BB22_55 Depth=2
	flat_load_b64 v[26:27], v[22:23]
	flat_load_b64 v[30:31], v[24:25]
	s_wait_loadcnt_dscnt 0x0
	v_pk_mul_f32 v[32:33], v[30:31], v[26:27] op_sel:[1,1] op_sel_hi:[0,1]
	s_delay_alu instid0(VALU_DEP_1) | instskip(SKIP_1) | instid1(VALU_DEP_2)
	v_pk_fma_f32 v[34:35], v[30:31], v[26:27], v[32:33] op_sel_hi:[1,0,1]
	v_pk_fma_f32 v[26:27], v[30:31], v[26:27], v[32:33] neg_lo:[0,0,1] neg_hi:[0,0,1]
	v_mov_b32_e32 v27, v35
	s_delay_alu instid0(VALU_DEP_1)
	v_pk_add_f32 v[26:27], v[20:21], v[26:27]
.LBB22_70:                              ;   in Loop: Header=BB22_55 Depth=2
	s_delay_alu instid0(VALU_DEP_1)
	v_mov_b64_e32 v[20:21], v[26:27]
.LBB22_71:                              ;   in Loop: Header=BB22_55 Depth=2
	s_wait_xcnt 0x0
	s_or_b32 exec_lo, exec_lo, s35
.LBB22_72:                              ;   in Loop: Header=BB22_55 Depth=2
	s_and_not1_saveexec_b32 s2, s2
	s_cbranch_execz .LBB22_53
; %bb.73:                               ;   in Loop: Header=BB22_55 Depth=2
	v_lshl_add_u64 v[26:27], v[2:3], 3, v[22:23]
	flat_load_b64 v[30:31], v[26:27]
	flat_load_b64 v[32:33], v[24:25]
	s_wait_loadcnt_dscnt 0x0
	s_wait_xcnt 0x1
	v_pk_mul_f32 v[26:27], v[32:33], v[30:31] op_sel:[1,1] op_sel_hi:[0,1]
	s_delay_alu instid0(VALU_DEP_1) | instskip(SKIP_1) | instid1(VALU_DEP_2)
	v_pk_fma_f32 v[34:35], v[32:33], v[30:31], v[26:27] op_sel_hi:[1,0,1]
	v_pk_fma_f32 v[26:27], v[32:33], v[30:31], v[26:27] neg_lo:[0,0,1] neg_hi:[0,0,1]
	v_mov_b32_e32 v27, v35
	s_delay_alu instid0(VALU_DEP_1)
	v_pk_add_f32 v[20:21], v[20:21], v[26:27]
	s_branch .LBB22_53
.LBB22_74:                              ;   in Loop: Header=BB22_3 Depth=1
	s_or_b32 exec_lo, exec_lo, s33
.LBB22_75:                              ;   in Loop: Header=BB22_3 Depth=1
	s_delay_alu instid0(SALU_CYCLE_1)
	s_or_b32 exec_lo, exec_lo, s31
.LBB22_76:                              ;   in Loop: Header=BB22_3 Depth=1
	ds_store_b64 v15, v[20:21]
	s_wait_loadcnt_dscnt 0x0
	s_barrier_signal -1
	s_barrier_wait -1
	s_wait_xcnt 0x0
	s_and_saveexec_b32 s2, s29
	s_cbranch_execz .LBB22_2
; %bb.77:                               ;   in Loop: Header=BB22_3 Depth=1
	ds_load_2addr_stride64_b64 v[20:23], v15 offset1:1
	ds_load_2addr_stride64_b64 v[24:27], v15 offset0:2 offset1:3
	ds_load_2addr_stride64_b64 v[28:31], v15 offset0:4 offset1:5
	v_add_nc_u64_e32 v[18:19], s[8:9], v[18:19]
	s_delay_alu instid0(VALU_DEP_1)
	v_lshl_add_u64 v[18:19], v[10:11], 3, v[18:19]
	s_wait_dscnt 0x2
	v_pk_add_f32 v[32:33], v[20:21], v[22:23]
	ds_load_2addr_stride64_b64 v[20:23], v15 offset0:6 offset1:7
	s_wait_dscnt 0x2
	v_pk_add_f32 v[24:25], v[32:33], v[24:25]
	s_delay_alu instid0(VALU_DEP_1) | instskip(SKIP_3) | instid1(VALU_DEP_1)
	v_pk_add_f32 v[32:33], v[24:25], v[26:27]
	ds_load_2addr_stride64_b64 v[24:27], v15 offset0:8 offset1:9
	s_wait_dscnt 0x2
	v_pk_add_f32 v[28:29], v[32:33], v[28:29]
	v_pk_add_f32 v[32:33], v[28:29], v[30:31]
	ds_load_2addr_stride64_b64 v[28:31], v15 offset0:10 offset1:11
	s_wait_dscnt 0x2
	v_pk_add_f32 v[20:21], v[32:33], v[20:21]
	s_delay_alu instid0(VALU_DEP_1) | instskip(SKIP_3) | instid1(VALU_DEP_1)
	v_pk_add_f32 v[32:33], v[20:21], v[22:23]
	ds_load_2addr_stride64_b64 v[20:23], v15 offset0:12 offset1:13
	s_wait_dscnt 0x2
	v_pk_add_f32 v[24:25], v[32:33], v[24:25]
	v_pk_add_f32 v[32:33], v[24:25], v[26:27]
	ds_load_2addr_stride64_b64 v[24:27], v15 offset0:14 offset1:15
	s_wait_dscnt 0x2
	v_pk_add_f32 v[28:29], v[32:33], v[28:29]
	s_delay_alu instid0(VALU_DEP_1) | instskip(SKIP_1) | instid1(VALU_DEP_1)
	v_pk_add_f32 v[28:29], v[28:29], v[30:31]
	s_wait_dscnt 0x1
	v_pk_add_f32 v[20:21], v[28:29], v[20:21]
	s_delay_alu instid0(VALU_DEP_1) | instskip(SKIP_1) | instid1(VALU_DEP_1)
	v_pk_add_f32 v[20:21], v[20:21], v[22:23]
	s_wait_dscnt 0x0
	v_pk_add_f32 v[20:21], v[20:21], v[24:25]
	s_delay_alu instid0(VALU_DEP_1)
	v_pk_add_f32 v[20:21], v[20:21], v[26:27]
	ds_store_b64 v15, v[20:21]
	flat_store_b64 v[18:19], v[20:21]
	s_branch .LBB22_2
.LBB22_78:
	s_endpgm
	.section	.rodata,"a",@progbits
	.p2align	6, 0x0
	.amdhsa_kernel _ZL20rocblas_tbmvx_kernelILi64ELi16EPKPK19rocblas_complex_numIfEPKPS1_Ev18rocblas_operation_bbiiT1_lllSA_T2_llli
		.amdhsa_group_segment_fixed_size 8192
		.amdhsa_private_segment_fixed_size 0
		.amdhsa_kernarg_size 352
		.amdhsa_user_sgpr_count 2
		.amdhsa_user_sgpr_dispatch_ptr 0
		.amdhsa_user_sgpr_queue_ptr 0
		.amdhsa_user_sgpr_kernarg_segment_ptr 1
		.amdhsa_user_sgpr_dispatch_id 0
		.amdhsa_user_sgpr_kernarg_preload_length 0
		.amdhsa_user_sgpr_kernarg_preload_offset 0
		.amdhsa_user_sgpr_private_segment_size 0
		.amdhsa_wavefront_size32 1
		.amdhsa_uses_dynamic_stack 0
		.amdhsa_enable_private_segment 0
		.amdhsa_system_sgpr_workgroup_id_x 1
		.amdhsa_system_sgpr_workgroup_id_y 0
		.amdhsa_system_sgpr_workgroup_id_z 1
		.amdhsa_system_sgpr_workgroup_info 0
		.amdhsa_system_vgpr_workitem_id 1
		.amdhsa_next_free_vgpr 46
		.amdhsa_next_free_sgpr 38
		.amdhsa_named_barrier_count 0
		.amdhsa_reserve_vcc 1
		.amdhsa_float_round_mode_32 0
		.amdhsa_float_round_mode_16_64 0
		.amdhsa_float_denorm_mode_32 3
		.amdhsa_float_denorm_mode_16_64 3
		.amdhsa_fp16_overflow 0
		.amdhsa_memory_ordered 1
		.amdhsa_forward_progress 1
		.amdhsa_inst_pref_size 20
		.amdhsa_round_robin_scheduling 0
		.amdhsa_exception_fp_ieee_invalid_op 0
		.amdhsa_exception_fp_denorm_src 0
		.amdhsa_exception_fp_ieee_div_zero 0
		.amdhsa_exception_fp_ieee_overflow 0
		.amdhsa_exception_fp_ieee_underflow 0
		.amdhsa_exception_fp_ieee_inexact 0
		.amdhsa_exception_int_div_zero 0
	.end_amdhsa_kernel
	.section	.text._ZL20rocblas_tbmvx_kernelILi64ELi16EPKPK19rocblas_complex_numIfEPKPS1_Ev18rocblas_operation_bbiiT1_lllSA_T2_llli,"axG",@progbits,_ZL20rocblas_tbmvx_kernelILi64ELi16EPKPK19rocblas_complex_numIfEPKPS1_Ev18rocblas_operation_bbiiT1_lllSA_T2_llli,comdat
.Lfunc_end22:
	.size	_ZL20rocblas_tbmvx_kernelILi64ELi16EPKPK19rocblas_complex_numIfEPKPS1_Ev18rocblas_operation_bbiiT1_lllSA_T2_llli, .Lfunc_end22-_ZL20rocblas_tbmvx_kernelILi64ELi16EPKPK19rocblas_complex_numIfEPKPS1_Ev18rocblas_operation_bbiiT1_lllSA_T2_llli
                                        ; -- End function
	.set _ZL20rocblas_tbmvx_kernelILi64ELi16EPKPK19rocblas_complex_numIfEPKPS1_Ev18rocblas_operation_bbiiT1_lllSA_T2_llli.num_vgpr, 46
	.set _ZL20rocblas_tbmvx_kernelILi64ELi16EPKPK19rocblas_complex_numIfEPKPS1_Ev18rocblas_operation_bbiiT1_lllSA_T2_llli.num_agpr, 0
	.set _ZL20rocblas_tbmvx_kernelILi64ELi16EPKPK19rocblas_complex_numIfEPKPS1_Ev18rocblas_operation_bbiiT1_lllSA_T2_llli.numbered_sgpr, 38
	.set _ZL20rocblas_tbmvx_kernelILi64ELi16EPKPK19rocblas_complex_numIfEPKPS1_Ev18rocblas_operation_bbiiT1_lllSA_T2_llli.num_named_barrier, 0
	.set _ZL20rocblas_tbmvx_kernelILi64ELi16EPKPK19rocblas_complex_numIfEPKPS1_Ev18rocblas_operation_bbiiT1_lllSA_T2_llli.private_seg_size, 0
	.set _ZL20rocblas_tbmvx_kernelILi64ELi16EPKPK19rocblas_complex_numIfEPKPS1_Ev18rocblas_operation_bbiiT1_lllSA_T2_llli.uses_vcc, 1
	.set _ZL20rocblas_tbmvx_kernelILi64ELi16EPKPK19rocblas_complex_numIfEPKPS1_Ev18rocblas_operation_bbiiT1_lllSA_T2_llli.uses_flat_scratch, 0
	.set _ZL20rocblas_tbmvx_kernelILi64ELi16EPKPK19rocblas_complex_numIfEPKPS1_Ev18rocblas_operation_bbiiT1_lllSA_T2_llli.has_dyn_sized_stack, 0
	.set _ZL20rocblas_tbmvx_kernelILi64ELi16EPKPK19rocblas_complex_numIfEPKPS1_Ev18rocblas_operation_bbiiT1_lllSA_T2_llli.has_recursion, 0
	.set _ZL20rocblas_tbmvx_kernelILi64ELi16EPKPK19rocblas_complex_numIfEPKPS1_Ev18rocblas_operation_bbiiT1_lllSA_T2_llli.has_indirect_call, 0
	.section	.AMDGPU.csdata,"",@progbits
; Kernel info:
; codeLenInByte = 2516
; TotalNumSgprs: 40
; NumVgprs: 46
; ScratchSize: 0
; MemoryBound: 1
; FloatMode: 240
; IeeeMode: 1
; LDSByteSize: 8192 bytes/workgroup (compile time only)
; SGPRBlocks: 0
; VGPRBlocks: 2
; NumSGPRsForWavesPerEU: 40
; NumVGPRsForWavesPerEU: 46
; NamedBarCnt: 0
; Occupancy: 16
; WaveLimiterHint : 1
; COMPUTE_PGM_RSRC2:SCRATCH_EN: 0
; COMPUTE_PGM_RSRC2:USER_SGPR: 2
; COMPUTE_PGM_RSRC2:TRAP_HANDLER: 0
; COMPUTE_PGM_RSRC2:TGID_X_EN: 1
; COMPUTE_PGM_RSRC2:TGID_Y_EN: 0
; COMPUTE_PGM_RSRC2:TGID_Z_EN: 1
; COMPUTE_PGM_RSRC2:TIDIG_COMP_CNT: 1
	.section	.text._ZL19rocblas_copy_kernelIlLi256EPKP19rocblas_complex_numIdES4_EviT1_lT_lT2_lS6_li,"axG",@progbits,_ZL19rocblas_copy_kernelIlLi256EPKP19rocblas_complex_numIdES4_EviT1_lT_lT2_lS6_li,comdat
	.globl	_ZL19rocblas_copy_kernelIlLi256EPKP19rocblas_complex_numIdES4_EviT1_lT_lT2_lS6_li ; -- Begin function _ZL19rocblas_copy_kernelIlLi256EPKP19rocblas_complex_numIdES4_EviT1_lT_lT2_lS6_li
	.p2align	8
	.type	_ZL19rocblas_copy_kernelIlLi256EPKP19rocblas_complex_numIdES4_EviT1_lT_lT2_lS6_li,@function
_ZL19rocblas_copy_kernelIlLi256EPKP19rocblas_complex_numIdES4_EviT1_lT_lT2_lS6_li: ; @_ZL19rocblas_copy_kernelIlLi256EPKP19rocblas_complex_numIdES4_EviT1_lT_lT2_lS6_li
; %bb.0:
	s_load_b32 s12, s[0:1], 0x48
	s_bfe_u32 s2, ttmp6, 0x40014
	s_lshr_b32 s3, ttmp7, 16
	s_add_co_i32 s2, s2, 1
	s_bfe_u32 s5, ttmp6, 0x40008
	s_mul_i32 s4, s3, s2
	s_getreg_b32 s2, hwreg(HW_REG_IB_STS2, 6, 4)
	s_add_co_i32 s5, s5, s4
	s_cmp_eq_u32 s2, 0
	s_cselect_b32 s13, s3, s5
	s_wait_kmcnt 0x0
	s_cmp_ge_u32 s13, s12
	s_cbranch_scc1 .LBB23_5
; %bb.1:
	s_clause 0x2
	s_load_b32 s14, s[0:1], 0x0
	s_load_b64 s[16:17], s[0:1], 0x18
	s_load_b64 s[18:19], s[0:1], 0x38
	s_bfe_u32 s3, ttmp6, 0x4000c
	s_and_b32 s8, ttmp6, 15
	s_add_co_i32 s3, s3, 1
	v_mov_b32_e32 v5, 0
	s_mul_i32 s3, ttmp9, s3
	s_load_b128 s[4:7], s[0:1], 0x8
	s_add_co_i32 s8, s8, s3
	s_wait_kmcnt 0x0
	s_ashr_i32 s15, s14, 31
	s_cmp_eq_u32 s2, 0
	s_cselect_b32 s2, ttmp9, s8
	s_load_b128 s[8:11], s[0:1], 0x28
	v_lshl_or_b32 v4, s2, 8, v0
	s_lshl_b64 s[2:3], s[6:7], 4
	s_delay_alu instid0(VALU_DEP_1)
	v_mul_u64_e32 v[0:1], s[16:17], v[4:5]
	v_mul_u64_e32 v[2:3], s[18:19], v[4:5]
	v_cmp_gt_i64_e32 vcc_lo, s[14:15], v[4:5]
	s_wait_kmcnt 0x0
	s_lshl_b64 s[0:1], s[10:11], 4
	s_branch .LBB23_3
.LBB23_2:                               ;   in Loop: Header=BB23_3 Depth=1
	s_wait_xcnt 0x0
	s_or_b32 exec_lo, exec_lo, s6
	s_add_co_i32 s13, s13, 0x10000
	s_delay_alu instid0(SALU_CYCLE_1)
	s_cmp_lt_u32 s13, s12
	s_cbranch_scc0 .LBB23_5
.LBB23_3:                               ; =>This Inner Loop Header: Depth=1
	s_and_saveexec_b32 s6, vcc_lo
	s_cbranch_execz .LBB23_2
; %bb.4:                                ;   in Loop: Header=BB23_3 Depth=1
	v_mov_b32_e32 v6, s13
	s_clause 0x1
	global_load_b64 v[4:5], v6, s[4:5] scale_offset
	global_load_b64 v[8:9], v6, s[8:9] scale_offset
	s_wait_loadcnt 0x1
	v_add_nc_u64_e32 v[4:5], s[2:3], v[4:5]
	s_wait_loadcnt 0x0
	v_add_nc_u64_e32 v[8:9], s[0:1], v[8:9]
	s_delay_alu instid0(VALU_DEP_2) | instskip(NEXT) | instid1(VALU_DEP_2)
	v_lshl_add_u64 v[4:5], v[0:1], 4, v[4:5]
	v_lshl_add_u64 v[8:9], v[2:3], 4, v[8:9]
	flat_load_b128 v[4:7], v[4:5]
	s_wait_loadcnt_dscnt 0x0
	flat_store_b128 v[8:9], v[4:7]
	s_branch .LBB23_2
.LBB23_5:
	s_endpgm
	.section	.rodata,"a",@progbits
	.p2align	6, 0x0
	.amdhsa_kernel _ZL19rocblas_copy_kernelIlLi256EPKP19rocblas_complex_numIdES4_EviT1_lT_lT2_lS6_li
		.amdhsa_group_segment_fixed_size 0
		.amdhsa_private_segment_fixed_size 0
		.amdhsa_kernarg_size 76
		.amdhsa_user_sgpr_count 2
		.amdhsa_user_sgpr_dispatch_ptr 0
		.amdhsa_user_sgpr_queue_ptr 0
		.amdhsa_user_sgpr_kernarg_segment_ptr 1
		.amdhsa_user_sgpr_dispatch_id 0
		.amdhsa_user_sgpr_kernarg_preload_length 0
		.amdhsa_user_sgpr_kernarg_preload_offset 0
		.amdhsa_user_sgpr_private_segment_size 0
		.amdhsa_wavefront_size32 1
		.amdhsa_uses_dynamic_stack 0
		.amdhsa_enable_private_segment 0
		.amdhsa_system_sgpr_workgroup_id_x 1
		.amdhsa_system_sgpr_workgroup_id_y 0
		.amdhsa_system_sgpr_workgroup_id_z 1
		.amdhsa_system_sgpr_workgroup_info 0
		.amdhsa_system_vgpr_workitem_id 0
		.amdhsa_next_free_vgpr 10
		.amdhsa_next_free_sgpr 20
		.amdhsa_named_barrier_count 0
		.amdhsa_reserve_vcc 1
		.amdhsa_float_round_mode_32 0
		.amdhsa_float_round_mode_16_64 0
		.amdhsa_float_denorm_mode_32 3
		.amdhsa_float_denorm_mode_16_64 3
		.amdhsa_fp16_overflow 0
		.amdhsa_memory_ordered 1
		.amdhsa_forward_progress 1
		.amdhsa_inst_pref_size 3
		.amdhsa_round_robin_scheduling 0
		.amdhsa_exception_fp_ieee_invalid_op 0
		.amdhsa_exception_fp_denorm_src 0
		.amdhsa_exception_fp_ieee_div_zero 0
		.amdhsa_exception_fp_ieee_overflow 0
		.amdhsa_exception_fp_ieee_underflow 0
		.amdhsa_exception_fp_ieee_inexact 0
		.amdhsa_exception_int_div_zero 0
	.end_amdhsa_kernel
	.section	.text._ZL19rocblas_copy_kernelIlLi256EPKP19rocblas_complex_numIdES4_EviT1_lT_lT2_lS6_li,"axG",@progbits,_ZL19rocblas_copy_kernelIlLi256EPKP19rocblas_complex_numIdES4_EviT1_lT_lT2_lS6_li,comdat
.Lfunc_end23:
	.size	_ZL19rocblas_copy_kernelIlLi256EPKP19rocblas_complex_numIdES4_EviT1_lT_lT2_lS6_li, .Lfunc_end23-_ZL19rocblas_copy_kernelIlLi256EPKP19rocblas_complex_numIdES4_EviT1_lT_lT2_lS6_li
                                        ; -- End function
	.set _ZL19rocblas_copy_kernelIlLi256EPKP19rocblas_complex_numIdES4_EviT1_lT_lT2_lS6_li.num_vgpr, 10
	.set _ZL19rocblas_copy_kernelIlLi256EPKP19rocblas_complex_numIdES4_EviT1_lT_lT2_lS6_li.num_agpr, 0
	.set _ZL19rocblas_copy_kernelIlLi256EPKP19rocblas_complex_numIdES4_EviT1_lT_lT2_lS6_li.numbered_sgpr, 20
	.set _ZL19rocblas_copy_kernelIlLi256EPKP19rocblas_complex_numIdES4_EviT1_lT_lT2_lS6_li.num_named_barrier, 0
	.set _ZL19rocblas_copy_kernelIlLi256EPKP19rocblas_complex_numIdES4_EviT1_lT_lT2_lS6_li.private_seg_size, 0
	.set _ZL19rocblas_copy_kernelIlLi256EPKP19rocblas_complex_numIdES4_EviT1_lT_lT2_lS6_li.uses_vcc, 1
	.set _ZL19rocblas_copy_kernelIlLi256EPKP19rocblas_complex_numIdES4_EviT1_lT_lT2_lS6_li.uses_flat_scratch, 0
	.set _ZL19rocblas_copy_kernelIlLi256EPKP19rocblas_complex_numIdES4_EviT1_lT_lT2_lS6_li.has_dyn_sized_stack, 0
	.set _ZL19rocblas_copy_kernelIlLi256EPKP19rocblas_complex_numIdES4_EviT1_lT_lT2_lS6_li.has_recursion, 0
	.set _ZL19rocblas_copy_kernelIlLi256EPKP19rocblas_complex_numIdES4_EviT1_lT_lT2_lS6_li.has_indirect_call, 0
	.section	.AMDGPU.csdata,"",@progbits
; Kernel info:
; codeLenInByte = 332
; TotalNumSgprs: 22
; NumVgprs: 10
; ScratchSize: 0
; MemoryBound: 0
; FloatMode: 240
; IeeeMode: 1
; LDSByteSize: 0 bytes/workgroup (compile time only)
; SGPRBlocks: 0
; VGPRBlocks: 0
; NumSGPRsForWavesPerEU: 22
; NumVGPRsForWavesPerEU: 10
; NamedBarCnt: 0
; Occupancy: 16
; WaveLimiterHint : 1
; COMPUTE_PGM_RSRC2:SCRATCH_EN: 0
; COMPUTE_PGM_RSRC2:USER_SGPR: 2
; COMPUTE_PGM_RSRC2:TRAP_HANDLER: 0
; COMPUTE_PGM_RSRC2:TGID_X_EN: 1
; COMPUTE_PGM_RSRC2:TGID_Y_EN: 0
; COMPUTE_PGM_RSRC2:TGID_Z_EN: 1
; COMPUTE_PGM_RSRC2:TIDIG_COMP_CNT: 0
	.section	.text._ZL19rocblas_copy_kernelIiLi256EPKP19rocblas_complex_numIdES4_EviT1_lT_lT2_lS6_li,"axG",@progbits,_ZL19rocblas_copy_kernelIiLi256EPKP19rocblas_complex_numIdES4_EviT1_lT_lT2_lS6_li,comdat
	.globl	_ZL19rocblas_copy_kernelIiLi256EPKP19rocblas_complex_numIdES4_EviT1_lT_lT2_lS6_li ; -- Begin function _ZL19rocblas_copy_kernelIiLi256EPKP19rocblas_complex_numIdES4_EviT1_lT_lT2_lS6_li
	.p2align	8
	.type	_ZL19rocblas_copy_kernelIiLi256EPKP19rocblas_complex_numIdES4_EviT1_lT_lT2_lS6_li,@function
_ZL19rocblas_copy_kernelIiLi256EPKP19rocblas_complex_numIdES4_EviT1_lT_lT2_lS6_li: ; @_ZL19rocblas_copy_kernelIiLi256EPKP19rocblas_complex_numIdES4_EviT1_lT_lT2_lS6_li
; %bb.0:
	s_load_b32 s12, s[0:1], 0x48
	s_bfe_u32 s2, ttmp6, 0x40014
	s_lshr_b32 s3, ttmp7, 16
	s_add_co_i32 s2, s2, 1
	s_bfe_u32 s5, ttmp6, 0x40008
	s_mul_i32 s4, s3, s2
	s_getreg_b32 s2, hwreg(HW_REG_IB_STS2, 6, 4)
	s_add_co_i32 s5, s5, s4
	s_cmp_eq_u32 s2, 0
	s_cselect_b32 s13, s3, s5
	s_wait_kmcnt 0x0
	s_cmp_ge_u32 s13, s12
	s_cbranch_scc1 .LBB24_5
; %bb.1:
	s_clause 0x2
	s_load_b32 s14, s[0:1], 0x0
	s_load_b32 s8, s[0:1], 0x18
	;; [unrolled: 1-line block ×3, first 2 shown]
	s_bfe_u32 s3, ttmp6, 0x4000c
	s_and_b32 s9, ttmp6, 15
	s_add_co_i32 s3, s3, 1
	v_mov_b32_e32 v5, 0
	s_mul_i32 s3, ttmp9, s3
	s_load_b128 s[4:7], s[0:1], 0x8
	s_add_co_i32 s3, s9, s3
	s_wait_kmcnt 0x0
	s_ashr_i32 s15, s14, 31
	s_ashr_i32 s9, s8, 31
	;; [unrolled: 1-line block ×3, first 2 shown]
	s_cmp_eq_u32 s2, 0
	s_cselect_b32 s2, ttmp9, s3
	s_delay_alu instid0(SALU_CYCLE_1) | instskip(NEXT) | instid1(VALU_DEP_1)
	v_lshl_or_b32 v4, s2, 8, v0
	v_mul_u64_e32 v[0:1], s[8:9], v[4:5]
	v_mul_u64_e32 v[2:3], s[10:11], v[4:5]
	s_load_b128 s[8:11], s[0:1], 0x28
	s_lshl_b64 s[2:3], s[6:7], 4
	v_cmp_gt_i64_e32 vcc_lo, s[14:15], v[4:5]
	s_wait_kmcnt 0x0
	s_lshl_b64 s[0:1], s[10:11], 4
	s_branch .LBB24_3
.LBB24_2:                               ;   in Loop: Header=BB24_3 Depth=1
	s_wait_xcnt 0x0
	s_or_b32 exec_lo, exec_lo, s6
	s_add_co_i32 s13, s13, 0x10000
	s_delay_alu instid0(SALU_CYCLE_1)
	s_cmp_lt_u32 s13, s12
	s_cbranch_scc0 .LBB24_5
.LBB24_3:                               ; =>This Inner Loop Header: Depth=1
	s_and_saveexec_b32 s6, vcc_lo
	s_cbranch_execz .LBB24_2
; %bb.4:                                ;   in Loop: Header=BB24_3 Depth=1
	v_mov_b32_e32 v6, s13
	s_clause 0x1
	global_load_b64 v[4:5], v6, s[4:5] scale_offset
	global_load_b64 v[8:9], v6, s[8:9] scale_offset
	s_wait_loadcnt 0x1
	v_add_nc_u64_e32 v[4:5], s[2:3], v[4:5]
	s_wait_loadcnt 0x0
	v_add_nc_u64_e32 v[8:9], s[0:1], v[8:9]
	s_delay_alu instid0(VALU_DEP_2) | instskip(NEXT) | instid1(VALU_DEP_2)
	v_lshl_add_u64 v[4:5], v[0:1], 4, v[4:5]
	v_lshl_add_u64 v[8:9], v[2:3], 4, v[8:9]
	flat_load_b128 v[4:7], v[4:5]
	s_wait_loadcnt_dscnt 0x0
	flat_store_b128 v[8:9], v[4:7]
	s_branch .LBB24_2
.LBB24_5:
	s_endpgm
	.section	.rodata,"a",@progbits
	.p2align	6, 0x0
	.amdhsa_kernel _ZL19rocblas_copy_kernelIiLi256EPKP19rocblas_complex_numIdES4_EviT1_lT_lT2_lS6_li
		.amdhsa_group_segment_fixed_size 0
		.amdhsa_private_segment_fixed_size 0
		.amdhsa_kernarg_size 76
		.amdhsa_user_sgpr_count 2
		.amdhsa_user_sgpr_dispatch_ptr 0
		.amdhsa_user_sgpr_queue_ptr 0
		.amdhsa_user_sgpr_kernarg_segment_ptr 1
		.amdhsa_user_sgpr_dispatch_id 0
		.amdhsa_user_sgpr_kernarg_preload_length 0
		.amdhsa_user_sgpr_kernarg_preload_offset 0
		.amdhsa_user_sgpr_private_segment_size 0
		.amdhsa_wavefront_size32 1
		.amdhsa_uses_dynamic_stack 0
		.amdhsa_enable_private_segment 0
		.amdhsa_system_sgpr_workgroup_id_x 1
		.amdhsa_system_sgpr_workgroup_id_y 0
		.amdhsa_system_sgpr_workgroup_id_z 1
		.amdhsa_system_sgpr_workgroup_info 0
		.amdhsa_system_vgpr_workitem_id 0
		.amdhsa_next_free_vgpr 10
		.amdhsa_next_free_sgpr 16
		.amdhsa_named_barrier_count 0
		.amdhsa_reserve_vcc 1
		.amdhsa_float_round_mode_32 0
		.amdhsa_float_round_mode_16_64 0
		.amdhsa_float_denorm_mode_32 3
		.amdhsa_float_denorm_mode_16_64 3
		.amdhsa_fp16_overflow 0
		.amdhsa_memory_ordered 1
		.amdhsa_forward_progress 1
		.amdhsa_inst_pref_size 3
		.amdhsa_round_robin_scheduling 0
		.amdhsa_exception_fp_ieee_invalid_op 0
		.amdhsa_exception_fp_denorm_src 0
		.amdhsa_exception_fp_ieee_div_zero 0
		.amdhsa_exception_fp_ieee_overflow 0
		.amdhsa_exception_fp_ieee_underflow 0
		.amdhsa_exception_fp_ieee_inexact 0
		.amdhsa_exception_int_div_zero 0
	.end_amdhsa_kernel
	.section	.text._ZL19rocblas_copy_kernelIiLi256EPKP19rocblas_complex_numIdES4_EviT1_lT_lT2_lS6_li,"axG",@progbits,_ZL19rocblas_copy_kernelIiLi256EPKP19rocblas_complex_numIdES4_EviT1_lT_lT2_lS6_li,comdat
.Lfunc_end24:
	.size	_ZL19rocblas_copy_kernelIiLi256EPKP19rocblas_complex_numIdES4_EviT1_lT_lT2_lS6_li, .Lfunc_end24-_ZL19rocblas_copy_kernelIiLi256EPKP19rocblas_complex_numIdES4_EviT1_lT_lT2_lS6_li
                                        ; -- End function
	.set _ZL19rocblas_copy_kernelIiLi256EPKP19rocblas_complex_numIdES4_EviT1_lT_lT2_lS6_li.num_vgpr, 10
	.set _ZL19rocblas_copy_kernelIiLi256EPKP19rocblas_complex_numIdES4_EviT1_lT_lT2_lS6_li.num_agpr, 0
	.set _ZL19rocblas_copy_kernelIiLi256EPKP19rocblas_complex_numIdES4_EviT1_lT_lT2_lS6_li.numbered_sgpr, 16
	.set _ZL19rocblas_copy_kernelIiLi256EPKP19rocblas_complex_numIdES4_EviT1_lT_lT2_lS6_li.num_named_barrier, 0
	.set _ZL19rocblas_copy_kernelIiLi256EPKP19rocblas_complex_numIdES4_EviT1_lT_lT2_lS6_li.private_seg_size, 0
	.set _ZL19rocblas_copy_kernelIiLi256EPKP19rocblas_complex_numIdES4_EviT1_lT_lT2_lS6_li.uses_vcc, 1
	.set _ZL19rocblas_copy_kernelIiLi256EPKP19rocblas_complex_numIdES4_EviT1_lT_lT2_lS6_li.uses_flat_scratch, 0
	.set _ZL19rocblas_copy_kernelIiLi256EPKP19rocblas_complex_numIdES4_EviT1_lT_lT2_lS6_li.has_dyn_sized_stack, 0
	.set _ZL19rocblas_copy_kernelIiLi256EPKP19rocblas_complex_numIdES4_EviT1_lT_lT2_lS6_li.has_recursion, 0
	.set _ZL19rocblas_copy_kernelIiLi256EPKP19rocblas_complex_numIdES4_EviT1_lT_lT2_lS6_li.has_indirect_call, 0
	.section	.AMDGPU.csdata,"",@progbits
; Kernel info:
; codeLenInByte = 340
; TotalNumSgprs: 18
; NumVgprs: 10
; ScratchSize: 0
; MemoryBound: 0
; FloatMode: 240
; IeeeMode: 1
; LDSByteSize: 0 bytes/workgroup (compile time only)
; SGPRBlocks: 0
; VGPRBlocks: 0
; NumSGPRsForWavesPerEU: 18
; NumVGPRsForWavesPerEU: 10
; NamedBarCnt: 0
; Occupancy: 16
; WaveLimiterHint : 1
; COMPUTE_PGM_RSRC2:SCRATCH_EN: 0
; COMPUTE_PGM_RSRC2:USER_SGPR: 2
; COMPUTE_PGM_RSRC2:TRAP_HANDLER: 0
; COMPUTE_PGM_RSRC2:TGID_X_EN: 1
; COMPUTE_PGM_RSRC2:TGID_Y_EN: 0
; COMPUTE_PGM_RSRC2:TGID_Z_EN: 1
; COMPUTE_PGM_RSRC2:TIDIG_COMP_CNT: 0
	.section	.text._ZL20rocblas_tbmvx_kernelILi64ELi16EPKPK19rocblas_complex_numIdEPKPS1_Ev18rocblas_operation_bbiiT1_lllSA_T2_llli,"axG",@progbits,_ZL20rocblas_tbmvx_kernelILi64ELi16EPKPK19rocblas_complex_numIdEPKPS1_Ev18rocblas_operation_bbiiT1_lllSA_T2_llli,comdat
	.globl	_ZL20rocblas_tbmvx_kernelILi64ELi16EPKPK19rocblas_complex_numIdEPKPS1_Ev18rocblas_operation_bbiiT1_lllSA_T2_llli ; -- Begin function _ZL20rocblas_tbmvx_kernelILi64ELi16EPKPK19rocblas_complex_numIdEPKPS1_Ev18rocblas_operation_bbiiT1_lllSA_T2_llli
	.p2align	8
	.type	_ZL20rocblas_tbmvx_kernelILi64ELi16EPKPK19rocblas_complex_numIdEPKPS1_Ev18rocblas_operation_bbiiT1_lllSA_T2_llli,@function
_ZL20rocblas_tbmvx_kernelILi64ELi16EPKPK19rocblas_complex_numIdEPKPS1_Ev18rocblas_operation_bbiiT1_lllSA_T2_llli: ; @_ZL20rocblas_tbmvx_kernelILi64ELi16EPKPK19rocblas_complex_numIdEPKPS1_Ev18rocblas_operation_bbiiT1_lllSA_T2_llli
; %bb.0:
	s_clause 0x1
	s_load_b64 s[4:5], s[0:1], 0x6c
	s_load_b32 s19, s[0:1], 0x58
	s_bfe_u32 s2, ttmp6, 0x40014
	s_lshr_b32 s6, ttmp7, 16
	s_add_co_i32 s2, s2, 1
	s_bfe_u32 s3, ttmp6, 0x40008
	s_mul_i32 s7, s6, s2
	s_getreg_b32 s2, hwreg(HW_REG_IB_STS2, 6, 4)
	s_add_co_i32 s7, s3, s7
	s_wait_kmcnt 0x0
	s_lshr_b32 s8, s4, 16
	s_and_b32 s3, s4, 0xffff
	s_and_b32 s4, s5, 0xffff
	s_mul_i32 s5, s8, s3
	s_cmp_eq_u32 s2, 0
	s_mul_i32 s5, s5, s4
	s_cselect_b32 s24, s6, s7
	s_cmp_lg_u32 s5, 0x400
	s_cselect_b32 s4, -1, 0
	s_cmp_ge_u32 s24, s19
	s_cselect_b32 s5, -1, 0
	s_delay_alu instid0(SALU_CYCLE_1) | instskip(NEXT) | instid1(SALU_CYCLE_1)
	s_or_b32 s4, s4, s5
	s_and_b32 vcc_lo, exec_lo, s4
	s_cbranch_vccnz .LBB25_62
; %bb.1:
	s_clause 0x1
	s_load_b64 s[22:23], s[0:1], 0x0
	s_load_b96 s[16:18], s[0:1], 0x4
	v_and_b32_e32 v1, 0x3ff, v0
	v_bfe_u32 v0, v0, 10, 10
	s_clause 0x1
	s_load_b64 s[20:21], s[0:1], 0x20
	s_load_b128 s[12:15], s[0:1], 0x10
	v_mov_b32_e32 v7, 0
	v_mad_u32_u24 v3, v0, s3, v1
	s_delay_alu instid0(VALU_DEP_1) | instskip(SKIP_2) | instid1(VALU_DEP_3)
	v_dual_mov_b32 v11, v7 :: v_dual_lshrrev_b32 v10, 6, v3
	v_dual_lshlrev_b32 v17, 4, v3 :: v_dual_bitop2_b32 v16, 63, v3 bitop3:0x40
	v_cmp_gt_u32_e32 vcc_lo, 64, v3
	v_lshlrev_b32_e32 v6, 4, v10
	s_wait_kmcnt 0x0
	s_bitcmp1_b32 s23, 0
	s_mov_b32 s34, s18
	s_cselect_b32 s23, -1, 0
	v_or_b32_e32 v12, 8, v6
	s_and_b32 s4, s23, exec_lo
	s_cselect_b32 s29, s18, 0
	s_xor_b32 s25, s23, -1
	s_bitcmp1_b32 s16, 8
	v_mul_u64_e32 v[0:1], s[20:21], v[10:11]
	s_cselect_b32 s27, -1, 0
	s_bfe_u32 s4, ttmp6, 0x4000c
	s_and_b32 s3, ttmp6, 15
	s_add_co_i32 s4, s4, 1
	s_delay_alu instid0(SALU_CYCLE_1) | instskip(NEXT) | instid1(SALU_CYCLE_1)
	s_mul_i32 s4, ttmp9, s4
	s_add_co_i32 s3, s3, s4
	s_cmp_eq_u32 s2, 0
	s_load_b256 s[4:11], s[0:1], 0x30
	s_cselect_b32 s2, ttmp9, s3
	v_cmp_ge_i32_e64 s3, s18, v10
	s_lshl_b32 s30, s2, 6
	s_delay_alu instid0(SALU_CYCLE_1)
	v_dual_mov_b32 v13, v7 :: v_dual_add_nc_u32 v2, s30, v3
	v_or_b32_e32 v4, s30, v16
	v_cmp_gt_i64_e64 s2, s[20:21], v[10:11]
	s_cmp_lg_u32 s22, 0x6f
	s_wait_xcnt 0x0
	v_cmp_gt_i32_e64 s0, s17, v10
	v_dual_ashrrev_i32 v3, 31, v2 :: v_dual_sub_nc_u32 v41, s18, v4
	v_ashrrev_i32_e32 v5, 31, v4
	s_cselect_b32 s16, -1, 0
	s_cmp_eq_u32 s22, 0x71
	v_xad_u32 v40, v4, -1, s17
	s_cselect_b32 s1, -1, 0
	v_mul_u64_e32 v[8:9], s[20:21], v[4:5]
	s_and_b32 s26, s3, s2
	s_and_b32 s2, s23, s27
	s_wait_kmcnt 0x0
	v_mul_u64_e32 v[14:15], s[10:11], v[2:3]
	s_xor_b32 s27, s27, -1
	s_xor_b32 s28, s2, -1
	s_cmp_lg_u32 s18, 0
	v_add3_u32 v3, s29, s30, v16
	s_cselect_b32 s22, -1, 0
	s_lshl_b64 s[10:11], s[14:15], 4
	v_cmp_gt_i32_e64 s3, s17, v2
	v_cmp_gt_i32_e64 s2, s17, v4
	v_subrev_nc_u32_e32 v16, s18, v4
	s_ashr_i32 s35, s18, 31
	s_and_b32 s14, s23, s22
	s_and_b32 s29, vcc_lo, s3
	s_nor_b32 s30, s14, s27
	s_lshl_b64 s[14:15], s[20:21], 8
	s_lshl_b64 s[22:23], s[34:35], 4
	;; [unrolled: 1-line block ×3, first 2 shown]
	v_lshl_add_u64 v[20:21], v[0:1], 4, s[10:11]
	s_delay_alu instid0(VALU_DEP_1) | instskip(SKIP_1) | instid1(VALU_DEP_1)
	v_dual_sub_nc_u32 v42, v3, v10 :: v_dual_bitop2_b32 v20, 8, v20 bitop3:0x54
	v_lshl_add_u64 v[18:19], v[8:9], 4, s[10:11]
	v_add_nc_u64_e32 v[18:19], v[18:19], v[6:7]
	s_delay_alu instid0(VALU_DEP_1)
	v_or_b32_e32 v18, 8, v18
	s_branch .LBB25_3
.LBB25_2:                               ;   in Loop: Header=BB25_3 Depth=1
	s_wait_xcnt 0x0
	s_or_b32 exec_lo, exec_lo, s3
	s_add_co_i32 s24, s24, 0x10000
	s_delay_alu instid0(SALU_CYCLE_1)
	s_cmp_lt_u32 s24, s19
	s_cbranch_scc0 .LBB25_62
.LBB25_3:                               ; =>This Loop Header: Depth=1
                                        ;     Child Loop BB25_11 Depth 2
                                        ;     Child Loop BB25_39 Depth 2
	v_mov_b32_e32 v0, s24
	s_and_b32 vcc_lo, exec_lo, s16
	s_mov_b32 s3, -1
	s_clause 0x2
	global_load_b64 v[24:25], v0, s[12:13] scale_offset
	global_load_b64 v[26:27], v0, s[4:5] scale_offset
	;; [unrolled: 1-line block ×3, first 2 shown]
                                        ; implicit-def: $vgpr0_vgpr1
	s_cbranch_vccz .LBB25_34
; %bb.4:                                ;   in Loop: Header=BB25_3 Depth=1
	s_wait_xcnt 0x0
	v_mov_b64_e32 v[0:1], 0
	v_mov_b64_e32 v[2:3], 0
	s_and_saveexec_b32 s31, s26
	s_cbranch_execz .LBB25_33
; %bb.5:                                ;   in Loop: Header=BB25_3 Depth=1
	s_wait_loadcnt 0x2
	v_add_nc_u64_e32 v[0:1], s[10:11], v[24:25]
	v_mov_b64_e32 v[2:3], 0
	v_add_nc_u64_e32 v[30:31], v[24:25], v[18:19]
	v_mov_b64_e32 v[32:33], v[10:11]
	s_wait_loadcnt 0x1
	v_lshl_add_u64 v[28:29], v[4:5], 4, v[26:27]
	s_mov_b32 s33, 0
	v_lshl_add_u64 v[34:35], v[8:9], 4, v[0:1]
	v_mov_b64_e32 v[0:1], v[2:3]
	s_branch .LBB25_11
.LBB25_6:                               ;   in Loop: Header=BB25_11 Depth=2
	s_delay_alu instid0(VALU_DEP_1) | instskip(NEXT) | instid1(VALU_DEP_3)
	v_mov_b64_e32 v[2:3], v[38:39]
	v_mov_b64_e32 v[0:1], v[36:37]
.LBB25_7:                               ;   in Loop: Header=BB25_11 Depth=2
	s_wait_xcnt 0x0
	s_or_b32 exec_lo, exec_lo, s35
.LBB25_8:                               ;   in Loop: Header=BB25_11 Depth=2
	s_delay_alu instid0(SALU_CYCLE_1) | instskip(NEXT) | instid1(VALU_DEP_1)
	s_or_b32 exec_lo, exec_lo, s3
	v_mov_b64_e32 v[36:37], v[2:3]
	s_delay_alu instid0(VALU_DEP_2)
	v_mov_b64_e32 v[38:39], v[0:1]
.LBB25_9:                               ;   in Loop: Header=BB25_11 Depth=2
	s_delay_alu instid0(VALU_DEP_1) | instskip(NEXT) | instid1(VALU_DEP_2)
	v_mov_b64_e32 v[0:1], v[38:39]
	v_mov_b64_e32 v[2:3], v[36:37]
.LBB25_10:                              ;   in Loop: Header=BB25_11 Depth=2
	s_or_b32 exec_lo, exec_lo, s34
	v_add_nc_u64_e32 v[32:33], 16, v[32:33]
	v_add_nc_u64_e32 v[30:31], 0x100, v[30:31]
	s_delay_alu instid0(VALU_DEP_2) | instskip(SKIP_1) | instid1(VALU_DEP_2)
	v_mov_b32_e32 v6, v32
	v_cmp_lt_i32_e64 s3, s18, v32
	v_cmp_le_u64_e32 vcc_lo, s[20:21], v[6:7]
	s_or_b32 s3, s3, vcc_lo
	s_delay_alu instid0(SALU_CYCLE_1) | instskip(NEXT) | instid1(SALU_CYCLE_1)
	s_and_b32 s3, exec_lo, s3
	s_or_b32 s33, s3, s33
	s_delay_alu instid0(SALU_CYCLE_1)
	s_and_not1_b32 exec_lo, exec_lo, s33
	s_cbranch_execz .LBB25_32
.LBB25_11:                              ;   Parent Loop BB25_3 Depth=1
                                        ; =>  This Inner Loop Header: Depth=2
	s_and_saveexec_b32 s34, s2
	s_cbranch_execz .LBB25_10
; %bb.12:                               ;   in Loop: Header=BB25_11 Depth=2
	s_and_b32 vcc_lo, exec_lo, s25
	s_mov_b32 s3, -1
                                        ; implicit-def: $vgpr36_vgpr37
                                        ; implicit-def: $vgpr38_vgpr39
	s_cbranch_vccz .LBB25_23
; %bb.13:                               ;   in Loop: Header=BB25_11 Depth=2
	v_cmp_eq_u64_e32 vcc_lo, 0, v[32:33]
	v_cmp_lt_i32_e64 s3, v40, v32
                                        ; implicit-def: $vgpr36_vgpr37
                                        ; implicit-def: $vgpr38_vgpr39
	s_or_b32 s3, vcc_lo, s3
	s_delay_alu instid0(SALU_CYCLE_1) | instskip(NEXT) | instid1(SALU_CYCLE_1)
	s_and_saveexec_b32 s35, s3
	s_xor_b32 s3, exec_lo, s35
	s_cbranch_execz .LBB25_20
; %bb.14:                               ;   in Loop: Header=BB25_11 Depth=2
	v_mov_b64_e32 v[36:37], v[2:3]
	v_mov_b64_e32 v[38:39], v[0:1]
	s_mov_b32 s35, exec_lo
	v_cmpx_eq_u64_e32 0, v[32:33]
	s_cbranch_execz .LBB25_19
; %bb.15:                               ;   in Loop: Header=BB25_11 Depth=2
	s_and_b32 vcc_lo, exec_lo, s27
	s_mov_b32 s36, -1
                                        ; implicit-def: $vgpr36_vgpr37
                                        ; implicit-def: $vgpr38_vgpr39
	s_cbranch_vccz .LBB25_17
; %bb.16:                               ;   in Loop: Header=BB25_11 Depth=2
	flat_load_b128 v[36:39], v[34:35]
	flat_load_b128 v[44:47], v[28:29]
	s_mov_b32 s36, 0
	s_wait_loadcnt_dscnt 0x101
	v_xor_b32_e32 v6, 0x80000000, v39
	s_delay_alu instid0(VALU_DEP_1) | instskip(SKIP_1) | instid1(VALU_DEP_1)
	v_cndmask_b32_e64 v39, v39, v6, s1
	s_wait_loadcnt_dscnt 0x0
	v_mul_f64_e32 v[48:49], v[38:39], v[46:47]
	v_mul_f64_e32 v[46:47], v[36:37], v[46:47]
	s_delay_alu instid0(VALU_DEP_2) | instskip(NEXT) | instid1(VALU_DEP_2)
	v_fma_f64 v[36:37], v[36:37], v[44:45], -v[48:49]
	v_fmac_f64_e32 v[46:47], v[38:39], v[44:45]
	s_delay_alu instid0(VALU_DEP_2) | instskip(NEXT) | instid1(VALU_DEP_2)
	v_add_f64_e32 v[38:39], v[0:1], v[36:37]
	v_add_f64_e32 v[36:37], v[2:3], v[46:47]
.LBB25_17:                              ;   in Loop: Header=BB25_11 Depth=2
	s_and_not1_b32 vcc_lo, exec_lo, s36
	s_cbranch_vccnz .LBB25_19
; %bb.18:                               ;   in Loop: Header=BB25_11 Depth=2
	flat_load_b128 v[44:47], v[28:29]
	s_wait_loadcnt_dscnt 0x0
	v_add_f64_e32 v[38:39], v[0:1], v[44:45]
	v_add_f64_e32 v[36:37], v[2:3], v[46:47]
.LBB25_19:                              ;   in Loop: Header=BB25_11 Depth=2
	s_wait_xcnt 0x0
	s_or_b32 exec_lo, exec_lo, s35
.LBB25_20:                              ;   in Loop: Header=BB25_11 Depth=2
	s_and_not1_saveexec_b32 s3, s3
	s_cbranch_execz .LBB25_22
; %bb.21:                               ;   in Loop: Header=BB25_11 Depth=2
	flat_load_b128 v[36:39], v[30:31] offset:-8
	v_add_nc_u32_e32 v6, v4, v32
	v_readfirstlane_b32 s36, v26
	v_readfirstlane_b32 s37, v27
	flat_load_b128 v[44:47], v6, s[36:37] scale_offset
	s_wait_loadcnt_dscnt 0x101
	s_wait_xcnt 0x0
	v_xor_b32_e32 v6, 0x80000000, v39
	s_delay_alu instid0(VALU_DEP_1) | instskip(SKIP_1) | instid1(VALU_DEP_1)
	v_cndmask_b32_e64 v39, v39, v6, s1
	s_wait_loadcnt_dscnt 0x0
	v_mul_f64_e32 v[48:49], v[38:39], v[46:47]
	v_mul_f64_e32 v[46:47], v[36:37], v[46:47]
	s_delay_alu instid0(VALU_DEP_2) | instskip(NEXT) | instid1(VALU_DEP_2)
	v_fma_f64 v[36:37], v[36:37], v[44:45], -v[48:49]
	v_fmac_f64_e32 v[46:47], v[38:39], v[44:45]
	s_delay_alu instid0(VALU_DEP_2) | instskip(NEXT) | instid1(VALU_DEP_2)
	v_add_f64_e32 v[38:39], v[0:1], v[36:37]
	v_add_f64_e32 v[36:37], v[2:3], v[46:47]
.LBB25_22:                              ;   in Loop: Header=BB25_11 Depth=2
	s_or_b32 exec_lo, exec_lo, s3
	s_mov_b32 s3, 0
.LBB25_23:                              ;   in Loop: Header=BB25_11 Depth=2
	s_delay_alu instid0(SALU_CYCLE_1)
	s_and_not1_b32 vcc_lo, exec_lo, s3
	s_cbranch_vccnz .LBB25_9
; %bb.24:                               ;   in Loop: Header=BB25_11 Depth=2
	v_cmp_gt_i32_e32 vcc_lo, s18, v32
	v_cmp_le_i32_e64 s3, v41, v32
	s_and_b32 s3, vcc_lo, s3
	s_delay_alu instid0(SALU_CYCLE_1) | instskip(NEXT) | instid1(SALU_CYCLE_1)
	s_and_saveexec_b32 s35, s3
	s_xor_b32 s3, exec_lo, s35
	s_cbranch_execz .LBB25_26
; %bb.25:                               ;   in Loop: Header=BB25_11 Depth=2
	flat_load_b128 v[36:39], v[30:31] offset:-8
	v_add_nc_u32_e32 v6, v16, v32
	v_readfirstlane_b32 s36, v26
	v_readfirstlane_b32 s37, v27
	flat_load_b128 v[44:47], v6, s[36:37] scale_offset
	s_wait_loadcnt_dscnt 0x101
	s_wait_xcnt 0x0
	v_xor_b32_e32 v6, 0x80000000, v39
	s_delay_alu instid0(VALU_DEP_1) | instskip(SKIP_1) | instid1(VALU_DEP_1)
	v_cndmask_b32_e64 v39, v39, v6, s1
	s_wait_loadcnt_dscnt 0x0
	v_mul_f64_e32 v[48:49], v[38:39], v[46:47]
	v_mul_f64_e32 v[46:47], v[36:37], v[46:47]
	s_delay_alu instid0(VALU_DEP_2) | instskip(NEXT) | instid1(VALU_DEP_2)
	v_fma_f64 v[36:37], v[36:37], v[44:45], -v[48:49]
	v_fmac_f64_e32 v[46:47], v[38:39], v[44:45]
	s_delay_alu instid0(VALU_DEP_2) | instskip(NEXT) | instid1(VALU_DEP_2)
	v_add_f64_e32 v[0:1], v[0:1], v[36:37]
	v_add_f64_e32 v[2:3], v[2:3], v[46:47]
.LBB25_26:                              ;   in Loop: Header=BB25_11 Depth=2
	s_and_not1_saveexec_b32 s3, s3
	s_cbranch_execz .LBB25_8
; %bb.27:                               ;   in Loop: Header=BB25_11 Depth=2
	s_mov_b32 s35, exec_lo
	v_cmpx_eq_u32_e64 s18, v32
	s_cbranch_execz .LBB25_7
; %bb.28:                               ;   in Loop: Header=BB25_11 Depth=2
	s_and_b32 vcc_lo, exec_lo, s27
	s_mov_b32 s36, -1
                                        ; implicit-def: $vgpr38_vgpr39
                                        ; implicit-def: $vgpr36_vgpr37
	s_cbranch_vccz .LBB25_30
; %bb.29:                               ;   in Loop: Header=BB25_11 Depth=2
	flat_load_b128 v[36:39], v[30:31] offset:-8
	flat_load_b128 v[44:47], v[28:29]
	s_mov_b32 s36, 0
	s_wait_loadcnt_dscnt 0x101
	v_xor_b32_e32 v6, 0x80000000, v39
	s_delay_alu instid0(VALU_DEP_1) | instskip(SKIP_1) | instid1(VALU_DEP_1)
	v_cndmask_b32_e64 v39, v39, v6, s1
	s_wait_loadcnt_dscnt 0x0
	v_mul_f64_e32 v[48:49], v[38:39], v[46:47]
	v_mul_f64_e32 v[46:47], v[36:37], v[46:47]
	s_delay_alu instid0(VALU_DEP_2) | instskip(NEXT) | instid1(VALU_DEP_2)
	v_fma_f64 v[36:37], v[36:37], v[44:45], -v[48:49]
	v_fmac_f64_e32 v[46:47], v[38:39], v[44:45]
	s_delay_alu instid0(VALU_DEP_2) | instskip(NEXT) | instid1(VALU_DEP_2)
	v_add_f64_e32 v[36:37], v[0:1], v[36:37]
	v_add_f64_e32 v[38:39], v[2:3], v[46:47]
.LBB25_30:                              ;   in Loop: Header=BB25_11 Depth=2
	s_and_not1_b32 vcc_lo, exec_lo, s36
	s_cbranch_vccnz .LBB25_6
; %bb.31:                               ;   in Loop: Header=BB25_11 Depth=2
	flat_load_b128 v[36:39], v[28:29]
	s_wait_loadcnt_dscnt 0x0
	v_add_f64_e32 v[36:37], v[0:1], v[36:37]
	v_add_f64_e32 v[38:39], v[2:3], v[38:39]
	s_branch .LBB25_6
.LBB25_32:                              ;   in Loop: Header=BB25_3 Depth=1
	s_or_b32 exec_lo, exec_lo, s33
.LBB25_33:                              ;   in Loop: Header=BB25_3 Depth=1
	s_delay_alu instid0(SALU_CYCLE_1)
	s_or_b32 exec_lo, exec_lo, s31
	s_mov_b32 s3, 0
.LBB25_34:                              ;   in Loop: Header=BB25_3 Depth=1
	s_delay_alu instid0(SALU_CYCLE_1)
	s_and_not1_b32 vcc_lo, exec_lo, s3
	s_cbranch_vccnz .LBB25_60
; %bb.35:                               ;   in Loop: Header=BB25_3 Depth=1
	s_wait_xcnt 0x0
	v_mov_b64_e32 v[0:1], 0
	v_mov_b64_e32 v[2:3], 0
	s_and_saveexec_b32 s31, s0
	s_cbranch_execz .LBB25_59
; %bb.36:                               ;   in Loop: Header=BB25_3 Depth=1
	v_mov_b64_e32 v[2:3], 0
	s_wait_loadcnt 0x1
	v_add_nc_u64_e32 v[26:27], v[26:27], v[12:13]
	v_add_nc_u64_e32 v[24:25], v[24:25], v[20:21]
	v_dual_mov_b32 v6, v42 :: v_dual_mov_b32 v32, v10
	s_mov_b32 s33, 0
	s_delay_alu instid0(VALU_DEP_4)
	v_mov_b64_e32 v[0:1], v[2:3]
	s_branch .LBB25_39
.LBB25_37:                              ;   in Loop: Header=BB25_39 Depth=2
	s_or_b32 exec_lo, exec_lo, s3
.LBB25_38:                              ;   in Loop: Header=BB25_39 Depth=2
	s_delay_alu instid0(SALU_CYCLE_1) | instskip(SKIP_3) | instid1(VALU_DEP_3)
	s_or_b32 exec_lo, exec_lo, s34
	v_dual_add_nc_u32 v32, 16, v32 :: v_dual_add_nc_u32 v6, -16, v6
	v_add_nc_u64_e32 v[26:27], 0x100, v[26:27]
	v_add_nc_u64_e32 v[24:25], s[14:15], v[24:25]
	v_cmp_le_i32_e32 vcc_lo, s17, v32
	s_or_b32 s33, vcc_lo, s33
	s_delay_alu instid0(SALU_CYCLE_1)
	s_and_not1_b32 exec_lo, exec_lo, s33
	s_cbranch_execz .LBB25_58
.LBB25_39:                              ;   Parent Loop BB25_3 Depth=1
                                        ; =>  This Inner Loop Header: Depth=2
	s_and_saveexec_b32 s34, s2
	s_cbranch_execz .LBB25_38
; %bb.40:                               ;   in Loop: Header=BB25_39 Depth=2
	v_cmp_le_i32_e32 vcc_lo, s18, v6
	v_cmp_gt_i32_e64 s3, 1, v6
	s_or_b32 s3, vcc_lo, s3
	s_delay_alu instid0(SALU_CYCLE_1) | instskip(NEXT) | instid1(SALU_CYCLE_1)
	s_and_saveexec_b32 s35, s3
	s_xor_b32 s3, exec_lo, s35
	s_cbranch_execz .LBB25_56
; %bb.41:                               ;   in Loop: Header=BB25_39 Depth=2
	s_mov_b32 s35, exec_lo
	v_cmpx_ne_u32_e32 0, v6
	s_xor_b32 s35, exec_lo, s35
	s_cbranch_execz .LBB25_49
; %bb.42:                               ;   in Loop: Header=BB25_39 Depth=2
	s_mov_b32 s36, exec_lo
	v_cmpx_eq_u32_e64 s18, v6
	s_cbranch_execz .LBB25_48
; %bb.43:                               ;   in Loop: Header=BB25_39 Depth=2
	s_and_b32 vcc_lo, exec_lo, s28
	s_mov_b32 s37, -1
                                        ; implicit-def: $vgpr30_vgpr31
                                        ; implicit-def: $vgpr28_vgpr29
	s_cbranch_vccz .LBB25_45
; %bb.44:                               ;   in Loop: Header=BB25_39 Depth=2
	v_add_nc_u64_e32 v[38:39], s[22:23], v[24:25]
	s_mov_b32 s37, 0
	flat_load_b128 v[28:31], v[26:27] offset:-8
	flat_load_b128 v[34:37], v[38:39] offset:-8
	s_wait_loadcnt_dscnt 0x0
	s_wait_xcnt 0x0
	v_mul_f64_e32 v[38:39], v[30:31], v[36:37]
	v_mul_f64_e32 v[36:37], v[28:29], v[36:37]
	s_delay_alu instid0(VALU_DEP_2) | instskip(NEXT) | instid1(VALU_DEP_2)
	v_fma_f64 v[28:29], v[28:29], v[34:35], -v[38:39]
	v_fmac_f64_e32 v[36:37], v[30:31], v[34:35]
	s_delay_alu instid0(VALU_DEP_2) | instskip(NEXT) | instid1(VALU_DEP_2)
	v_add_f64_e32 v[28:29], v[0:1], v[28:29]
	v_add_f64_e32 v[30:31], v[2:3], v[36:37]
.LBB25_45:                              ;   in Loop: Header=BB25_39 Depth=2
	s_and_not1_b32 vcc_lo, exec_lo, s37
	s_cbranch_vccnz .LBB25_47
; %bb.46:                               ;   in Loop: Header=BB25_39 Depth=2
	flat_load_b128 v[28:31], v[26:27] offset:-8
	s_wait_loadcnt_dscnt 0x0
	v_add_f64_e32 v[28:29], v[0:1], v[28:29]
	v_add_f64_e32 v[30:31], v[2:3], v[30:31]
.LBB25_47:                              ;   in Loop: Header=BB25_39 Depth=2
	s_delay_alu instid0(VALU_DEP_1) | instskip(NEXT) | instid1(VALU_DEP_3)
	v_mov_b64_e32 v[2:3], v[30:31]
	v_mov_b64_e32 v[0:1], v[28:29]
.LBB25_48:                              ;   in Loop: Header=BB25_39 Depth=2
	s_wait_xcnt 0x0
	s_or_b32 exec_lo, exec_lo, s36
.LBB25_49:                              ;   in Loop: Header=BB25_39 Depth=2
	s_and_not1_saveexec_b32 s35, s35
	s_cbranch_execz .LBB25_55
; %bb.50:                               ;   in Loop: Header=BB25_39 Depth=2
	s_and_not1_b32 vcc_lo, exec_lo, s30
	s_mov_b32 s36, -1
                                        ; implicit-def: $vgpr30_vgpr31
                                        ; implicit-def: $vgpr28_vgpr29
	s_cbranch_vccnz .LBB25_52
; %bb.51:                               ;   in Loop: Header=BB25_39 Depth=2
	flat_load_b128 v[28:31], v[26:27] offset:-8
	s_mov_b32 s36, 0
	s_wait_loadcnt_dscnt 0x0
	v_add_f64_e32 v[28:29], v[0:1], v[28:29]
	v_add_f64_e32 v[30:31], v[2:3], v[30:31]
.LBB25_52:                              ;   in Loop: Header=BB25_39 Depth=2
	s_and_not1_b32 vcc_lo, exec_lo, s36
	s_cbranch_vccnz .LBB25_54
; %bb.53:                               ;   in Loop: Header=BB25_39 Depth=2
	flat_load_b128 v[28:31], v[26:27] offset:-8
	flat_load_b128 v[34:37], v[24:25] offset:-8
	s_wait_loadcnt_dscnt 0x0
	v_mul_f64_e32 v[38:39], v[30:31], v[36:37]
	v_mul_f64_e32 v[36:37], v[28:29], v[36:37]
	s_delay_alu instid0(VALU_DEP_2) | instskip(NEXT) | instid1(VALU_DEP_2)
	v_fma_f64 v[28:29], v[28:29], v[34:35], -v[38:39]
	v_fmac_f64_e32 v[36:37], v[30:31], v[34:35]
	s_delay_alu instid0(VALU_DEP_2) | instskip(NEXT) | instid1(VALU_DEP_2)
	v_add_f64_e32 v[28:29], v[0:1], v[28:29]
	v_add_f64_e32 v[30:31], v[2:3], v[36:37]
.LBB25_54:                              ;   in Loop: Header=BB25_39 Depth=2
	s_delay_alu instid0(VALU_DEP_1) | instskip(NEXT) | instid1(VALU_DEP_3)
	v_mov_b64_e32 v[2:3], v[30:31]
	v_mov_b64_e32 v[0:1], v[28:29]
.LBB25_55:                              ;   in Loop: Header=BB25_39 Depth=2
	s_wait_xcnt 0x0
	s_or_b32 exec_lo, exec_lo, s35
.LBB25_56:                              ;   in Loop: Header=BB25_39 Depth=2
	s_and_not1_saveexec_b32 s3, s3
	s_cbranch_execz .LBB25_37
; %bb.57:                               ;   in Loop: Header=BB25_39 Depth=2
	v_lshl_add_u64 v[38:39], v[6:7], 4, v[24:25]
	flat_load_b128 v[28:31], v[26:27] offset:-8
	flat_load_b128 v[34:37], v[38:39] offset:-8
	s_wait_loadcnt_dscnt 0x0
	s_wait_xcnt 0x0
	v_mul_f64_e32 v[38:39], v[30:31], v[36:37]
	v_mul_f64_e32 v[36:37], v[28:29], v[36:37]
	s_delay_alu instid0(VALU_DEP_2) | instskip(NEXT) | instid1(VALU_DEP_2)
	v_fma_f64 v[28:29], v[28:29], v[34:35], -v[38:39]
	v_fmac_f64_e32 v[36:37], v[30:31], v[34:35]
	s_delay_alu instid0(VALU_DEP_2) | instskip(NEXT) | instid1(VALU_DEP_2)
	v_add_f64_e32 v[0:1], v[0:1], v[28:29]
	v_add_f64_e32 v[2:3], v[2:3], v[36:37]
	s_branch .LBB25_37
.LBB25_58:                              ;   in Loop: Header=BB25_3 Depth=1
	s_or_b32 exec_lo, exec_lo, s33
.LBB25_59:                              ;   in Loop: Header=BB25_3 Depth=1
	s_delay_alu instid0(SALU_CYCLE_1)
	s_or_b32 exec_lo, exec_lo, s31
.LBB25_60:                              ;   in Loop: Header=BB25_3 Depth=1
	ds_store_b128 v17, v[0:3]
	s_wait_loadcnt_dscnt 0x0
	s_barrier_signal -1
	s_barrier_wait -1
	s_wait_xcnt 0x0
	s_and_saveexec_b32 s3, s29
	s_cbranch_execz .LBB25_2
; %bb.61:                               ;   in Loop: Header=BB25_3 Depth=1
	ds_load_b128 v[0:3], v17
	ds_load_b128 v[24:27], v17 offset:1024
	v_add_nc_u64_e32 v[22:23], s[8:9], v[22:23]
	s_delay_alu instid0(VALU_DEP_1)
	v_lshl_add_u64 v[22:23], v[14:15], 4, v[22:23]
	s_wait_dscnt 0x0
	v_add_f64_e32 v[28:29], v[0:1], v[24:25]
	v_add_f64_e32 v[30:31], v[2:3], v[26:27]
	ds_load_b128 v[0:3], v17 offset:2048
	ds_load_b128 v[24:27], v17 offset:3072
	s_wait_dscnt 0x1
	v_add_f64_e32 v[0:1], v[28:29], v[0:1]
	v_add_f64_e32 v[2:3], v[30:31], v[2:3]
	s_wait_dscnt 0x0
	s_delay_alu instid0(VALU_DEP_2) | instskip(NEXT) | instid1(VALU_DEP_2)
	v_add_f64_e32 v[28:29], v[0:1], v[24:25]
	v_add_f64_e32 v[30:31], v[2:3], v[26:27]
	ds_load_b128 v[0:3], v17 offset:4096
	ds_load_b128 v[24:27], v17 offset:5120
	s_wait_dscnt 0x1
	v_add_f64_e32 v[0:1], v[28:29], v[0:1]
	v_add_f64_e32 v[2:3], v[30:31], v[2:3]
	s_wait_dscnt 0x0
	s_delay_alu instid0(VALU_DEP_2) | instskip(NEXT) | instid1(VALU_DEP_2)
	;; [unrolled: 9-line block ×7, first 2 shown]
	v_add_f64_e32 v[0:1], v[0:1], v[24:25]
	v_add_f64_e32 v[2:3], v[2:3], v[26:27]
	ds_store_b128 v17, v[0:3]
	flat_store_b128 v[22:23], v[0:3]
	s_branch .LBB25_2
.LBB25_62:
	s_endpgm
	.section	.rodata,"a",@progbits
	.p2align	6, 0x0
	.amdhsa_kernel _ZL20rocblas_tbmvx_kernelILi64ELi16EPKPK19rocblas_complex_numIdEPKPS1_Ev18rocblas_operation_bbiiT1_lllSA_T2_llli
		.amdhsa_group_segment_fixed_size 16384
		.amdhsa_private_segment_fixed_size 0
		.amdhsa_kernarg_size 352
		.amdhsa_user_sgpr_count 2
		.amdhsa_user_sgpr_dispatch_ptr 0
		.amdhsa_user_sgpr_queue_ptr 0
		.amdhsa_user_sgpr_kernarg_segment_ptr 1
		.amdhsa_user_sgpr_dispatch_id 0
		.amdhsa_user_sgpr_kernarg_preload_length 0
		.amdhsa_user_sgpr_kernarg_preload_offset 0
		.amdhsa_user_sgpr_private_segment_size 0
		.amdhsa_wavefront_size32 1
		.amdhsa_uses_dynamic_stack 0
		.amdhsa_enable_private_segment 0
		.amdhsa_system_sgpr_workgroup_id_x 1
		.amdhsa_system_sgpr_workgroup_id_y 0
		.amdhsa_system_sgpr_workgroup_id_z 1
		.amdhsa_system_sgpr_workgroup_info 0
		.amdhsa_system_vgpr_workitem_id 1
		.amdhsa_next_free_vgpr 50
		.amdhsa_next_free_sgpr 38
		.amdhsa_named_barrier_count 0
		.amdhsa_reserve_vcc 1
		.amdhsa_float_round_mode_32 0
		.amdhsa_float_round_mode_16_64 0
		.amdhsa_float_denorm_mode_32 3
		.amdhsa_float_denorm_mode_16_64 3
		.amdhsa_fp16_overflow 0
		.amdhsa_memory_ordered 1
		.amdhsa_forward_progress 1
		.amdhsa_inst_pref_size 20
		.amdhsa_round_robin_scheduling 0
		.amdhsa_exception_fp_ieee_invalid_op 0
		.amdhsa_exception_fp_denorm_src 0
		.amdhsa_exception_fp_ieee_div_zero 0
		.amdhsa_exception_fp_ieee_overflow 0
		.amdhsa_exception_fp_ieee_underflow 0
		.amdhsa_exception_fp_ieee_inexact 0
		.amdhsa_exception_int_div_zero 0
	.end_amdhsa_kernel
	.section	.text._ZL20rocblas_tbmvx_kernelILi64ELi16EPKPK19rocblas_complex_numIdEPKPS1_Ev18rocblas_operation_bbiiT1_lllSA_T2_llli,"axG",@progbits,_ZL20rocblas_tbmvx_kernelILi64ELi16EPKPK19rocblas_complex_numIdEPKPS1_Ev18rocblas_operation_bbiiT1_lllSA_T2_llli,comdat
.Lfunc_end25:
	.size	_ZL20rocblas_tbmvx_kernelILi64ELi16EPKPK19rocblas_complex_numIdEPKPS1_Ev18rocblas_operation_bbiiT1_lllSA_T2_llli, .Lfunc_end25-_ZL20rocblas_tbmvx_kernelILi64ELi16EPKPK19rocblas_complex_numIdEPKPS1_Ev18rocblas_operation_bbiiT1_lllSA_T2_llli
                                        ; -- End function
	.set _ZL20rocblas_tbmvx_kernelILi64ELi16EPKPK19rocblas_complex_numIdEPKPS1_Ev18rocblas_operation_bbiiT1_lllSA_T2_llli.num_vgpr, 50
	.set _ZL20rocblas_tbmvx_kernelILi64ELi16EPKPK19rocblas_complex_numIdEPKPS1_Ev18rocblas_operation_bbiiT1_lllSA_T2_llli.num_agpr, 0
	.set _ZL20rocblas_tbmvx_kernelILi64ELi16EPKPK19rocblas_complex_numIdEPKPS1_Ev18rocblas_operation_bbiiT1_lllSA_T2_llli.numbered_sgpr, 38
	.set _ZL20rocblas_tbmvx_kernelILi64ELi16EPKPK19rocblas_complex_numIdEPKPS1_Ev18rocblas_operation_bbiiT1_lllSA_T2_llli.num_named_barrier, 0
	.set _ZL20rocblas_tbmvx_kernelILi64ELi16EPKPK19rocblas_complex_numIdEPKPS1_Ev18rocblas_operation_bbiiT1_lllSA_T2_llli.private_seg_size, 0
	.set _ZL20rocblas_tbmvx_kernelILi64ELi16EPKPK19rocblas_complex_numIdEPKPS1_Ev18rocblas_operation_bbiiT1_lllSA_T2_llli.uses_vcc, 1
	.set _ZL20rocblas_tbmvx_kernelILi64ELi16EPKPK19rocblas_complex_numIdEPKPS1_Ev18rocblas_operation_bbiiT1_lllSA_T2_llli.uses_flat_scratch, 0
	.set _ZL20rocblas_tbmvx_kernelILi64ELi16EPKPK19rocblas_complex_numIdEPKPS1_Ev18rocblas_operation_bbiiT1_lllSA_T2_llli.has_dyn_sized_stack, 0
	.set _ZL20rocblas_tbmvx_kernelILi64ELi16EPKPK19rocblas_complex_numIdEPKPS1_Ev18rocblas_operation_bbiiT1_lllSA_T2_llli.has_recursion, 0
	.set _ZL20rocblas_tbmvx_kernelILi64ELi16EPKPK19rocblas_complex_numIdEPKPS1_Ev18rocblas_operation_bbiiT1_lllSA_T2_llli.has_indirect_call, 0
	.section	.AMDGPU.csdata,"",@progbits
; Kernel info:
; codeLenInByte = 2492
; TotalNumSgprs: 40
; NumVgprs: 50
; ScratchSize: 0
; MemoryBound: 1
; FloatMode: 240
; IeeeMode: 1
; LDSByteSize: 16384 bytes/workgroup (compile time only)
; SGPRBlocks: 0
; VGPRBlocks: 3
; NumSGPRsForWavesPerEU: 40
; NumVGPRsForWavesPerEU: 50
; NamedBarCnt: 0
; Occupancy: 16
; WaveLimiterHint : 1
; COMPUTE_PGM_RSRC2:SCRATCH_EN: 0
; COMPUTE_PGM_RSRC2:USER_SGPR: 2
; COMPUTE_PGM_RSRC2:TRAP_HANDLER: 0
; COMPUTE_PGM_RSRC2:TGID_X_EN: 1
; COMPUTE_PGM_RSRC2:TGID_Y_EN: 0
; COMPUTE_PGM_RSRC2:TGID_Z_EN: 1
; COMPUTE_PGM_RSRC2:TIDIG_COMP_CNT: 1
	.section	.AMDGPU.gpr_maximums,"",@progbits
	.set amdgpu.max_num_vgpr, 0
	.set amdgpu.max_num_agpr, 0
	.set amdgpu.max_num_sgpr, 0
	.section	.AMDGPU.csdata,"",@progbits
	.type	__hip_cuid_ad5e1ad4e27dc57f,@object ; @__hip_cuid_ad5e1ad4e27dc57f
	.section	.bss,"aw",@nobits
	.globl	__hip_cuid_ad5e1ad4e27dc57f
__hip_cuid_ad5e1ad4e27dc57f:
	.byte	0                               ; 0x0
	.size	__hip_cuid_ad5e1ad4e27dc57f, 1

	.ident	"AMD clang version 22.0.0git (https://github.com/RadeonOpenCompute/llvm-project roc-7.2.4 26084 f58b06dce1f9c15707c5f808fd002e18c2accf7e)"
	.section	".note.GNU-stack","",@progbits
	.addrsig
	.addrsig_sym __hip_cuid_ad5e1ad4e27dc57f
	.amdgpu_metadata
---
amdhsa.kernels:
  - .args:
      - .offset:         0
        .size:           4
        .value_kind:     by_value
      - .address_space:  global
        .offset:         8
        .size:           8
        .value_kind:     global_buffer
      - .offset:         16
        .size:           8
        .value_kind:     by_value
      - .offset:         24
        .size:           8
        .value_kind:     by_value
      - .offset:         32
        .size:           8
        .value_kind:     by_value
      - .address_space:  global
        .offset:         40
        .size:           8
        .value_kind:     global_buffer
      - .offset:         48
        .size:           8
        .value_kind:     by_value
      - .offset:         56
        .size:           8
        .value_kind:     by_value
      - .offset:         64
        .size:           8
        .value_kind:     by_value
      - .offset:         72
        .size:           4
        .value_kind:     by_value
    .group_segment_fixed_size: 0
    .kernarg_segment_align: 8
    .kernarg_segment_size: 76
    .language:       OpenCL C
    .language_version:
      - 2
      - 0
    .max_flat_workgroup_size: 256
    .name:           _ZL19rocblas_copy_kernelIlLi256EPfS0_EviT1_lT_lT2_lS2_li
    .private_segment_fixed_size: 0
    .sgpr_count:     27
    .sgpr_spill_count: 0
    .symbol:         _ZL19rocblas_copy_kernelIlLi256EPfS0_EviT1_lT_lT2_lS2_li.kd
    .uniform_work_group_size: 1
    .uses_dynamic_stack: false
    .vgpr_count:     7
    .vgpr_spill_count: 0
    .wavefront_size: 32
  - .args:
      - .offset:         0
        .size:           4
        .value_kind:     by_value
      - .actual_access:  read_only
        .address_space:  global
        .offset:         8
        .size:           8
        .value_kind:     global_buffer
      - .offset:         16
        .size:           8
        .value_kind:     by_value
      - .offset:         24
        .size:           8
        .value_kind:     by_value
      - .actual_access:  write_only
        .address_space:  global
        .offset:         32
        .size:           8
        .value_kind:     global_buffer
      - .offset:         40
        .size:           8
        .value_kind:     by_value
      - .offset:         48
        .size:           8
        .value_kind:     by_value
      - .offset:         56
        .size:           4
        .value_kind:     by_value
    .group_segment_fixed_size: 0
    .kernarg_segment_align: 8
    .kernarg_segment_size: 60
    .language:       OpenCL C
    .language_version:
      - 2
      - 0
    .max_flat_workgroup_size: 256
    .name:           _ZL22rocblas_scopy_2_kernelILi256EPfS0_EviT0_llT1_lli
    .private_segment_fixed_size: 0
    .sgpr_count:     23
    .sgpr_spill_count: 0
    .symbol:         _ZL22rocblas_scopy_2_kernelILi256EPfS0_EviT0_llT1_lli.kd
    .uniform_work_group_size: 1
    .uses_dynamic_stack: false
    .vgpr_count:     8
    .vgpr_spill_count: 0
    .wavefront_size: 32
  - .args:
      - .offset:         0
        .size:           4
        .value_kind:     by_value
      - .address_space:  global
        .offset:         8
        .size:           8
        .value_kind:     global_buffer
      - .offset:         16
        .size:           8
        .value_kind:     by_value
      - .offset:         24
        .size:           4
        .value_kind:     by_value
      - .offset:         32
        .size:           8
        .value_kind:     by_value
      - .address_space:  global
        .offset:         40
        .size:           8
        .value_kind:     global_buffer
      - .offset:         48
        .size:           8
        .value_kind:     by_value
      - .offset:         56
        .size:           4
        .value_kind:     by_value
      - .offset:         64
        .size:           8
        .value_kind:     by_value
      - .offset:         72
        .size:           4
        .value_kind:     by_value
    .group_segment_fixed_size: 0
    .kernarg_segment_align: 8
    .kernarg_segment_size: 76
    .language:       OpenCL C
    .language_version:
      - 2
      - 0
    .max_flat_workgroup_size: 256
    .name:           _ZL19rocblas_copy_kernelIiLi256EPfS0_EviT1_lT_lT2_lS2_li
    .private_segment_fixed_size: 0
    .sgpr_count:     24
    .sgpr_spill_count: 0
    .symbol:         _ZL19rocblas_copy_kernelIiLi256EPfS0_EviT1_lT_lT2_lS2_li.kd
    .uniform_work_group_size: 1
    .uses_dynamic_stack: false
    .vgpr_count:     7
    .vgpr_spill_count: 0
    .wavefront_size: 32
  - .args:
      - .offset:         0
        .size:           4
        .value_kind:     by_value
      - .offset:         4
        .size:           1
        .value_kind:     by_value
      - .offset:         5
        .size:           1
        .value_kind:     by_value
      - .offset:         8
        .size:           4
        .value_kind:     by_value
      - .offset:         12
        .size:           4
        .value_kind:     by_value
      - .address_space:  global
        .offset:         16
        .size:           8
        .value_kind:     global_buffer
      - .offset:         24
        .size:           8
        .value_kind:     by_value
      - .offset:         32
        .size:           8
        .value_kind:     by_value
      - .offset:         40
        .size:           8
        .value_kind:     by_value
      - .address_space:  global
        .offset:         48
        .size:           8
        .value_kind:     global_buffer
      - .address_space:  global
        .offset:         56
        .size:           8
        .value_kind:     global_buffer
      - .offset:         64
        .size:           8
        .value_kind:     by_value
      - .offset:         72
        .size:           8
        .value_kind:     by_value
      - .offset:         80
        .size:           8
        .value_kind:     by_value
      - .offset:         88
        .size:           4
        .value_kind:     by_value
      - .offset:         96
        .size:           4
        .value_kind:     hidden_block_count_x
      - .offset:         100
        .size:           4
        .value_kind:     hidden_block_count_y
      - .offset:         104
        .size:           4
        .value_kind:     hidden_block_count_z
      - .offset:         108
        .size:           2
        .value_kind:     hidden_group_size_x
      - .offset:         110
        .size:           2
        .value_kind:     hidden_group_size_y
      - .offset:         112
        .size:           2
        .value_kind:     hidden_group_size_z
      - .offset:         114
        .size:           2
        .value_kind:     hidden_remainder_x
      - .offset:         116
        .size:           2
        .value_kind:     hidden_remainder_y
      - .offset:         118
        .size:           2
        .value_kind:     hidden_remainder_z
      - .offset:         136
        .size:           8
        .value_kind:     hidden_global_offset_x
      - .offset:         144
        .size:           8
        .value_kind:     hidden_global_offset_y
      - .offset:         152
        .size:           8
        .value_kind:     hidden_global_offset_z
      - .offset:         160
        .size:           2
        .value_kind:     hidden_grid_dims
    .group_segment_fixed_size: 4096
    .kernarg_segment_align: 8
    .kernarg_segment_size: 352
    .language:       OpenCL C
    .language_version:
      - 2
      - 0
    .max_flat_workgroup_size: 1024
    .name:           _ZL20rocblas_tbmvx_kernelILi64ELi16EPKfPfEv18rocblas_operation_bbiiT1_lllS4_T2_llli
    .private_segment_fixed_size: 0
    .sgpr_count:     48
    .sgpr_spill_count: 0
    .symbol:         _ZL20rocblas_tbmvx_kernelILi64ELi16EPKfPfEv18rocblas_operation_bbiiT1_lllS4_T2_llli.kd
    .uniform_work_group_size: 1
    .uses_dynamic_stack: false
    .vgpr_count:     32
    .vgpr_spill_count: 0
    .wavefront_size: 32
  - .args:
      - .offset:         0
        .size:           4
        .value_kind:     by_value
      - .address_space:  global
        .offset:         8
        .size:           8
        .value_kind:     global_buffer
      - .offset:         16
        .size:           8
        .value_kind:     by_value
      - .offset:         24
        .size:           8
        .value_kind:     by_value
      - .offset:         32
        .size:           8
        .value_kind:     by_value
      - .address_space:  global
        .offset:         40
        .size:           8
        .value_kind:     global_buffer
      - .offset:         48
        .size:           8
        .value_kind:     by_value
      - .offset:         56
        .size:           8
        .value_kind:     by_value
      - .offset:         64
        .size:           8
        .value_kind:     by_value
      - .offset:         72
        .size:           4
        .value_kind:     by_value
    .group_segment_fixed_size: 0
    .kernarg_segment_align: 8
    .kernarg_segment_size: 76
    .language:       OpenCL C
    .language_version:
      - 2
      - 0
    .max_flat_workgroup_size: 256
    .name:           _ZL19rocblas_copy_kernelIlLi256EPdS0_EviT1_lT_lT2_lS2_li
    .private_segment_fixed_size: 0
    .sgpr_count:     27
    .sgpr_spill_count: 0
    .symbol:         _ZL19rocblas_copy_kernelIlLi256EPdS0_EviT1_lT_lT2_lS2_li.kd
    .uniform_work_group_size: 1
    .uses_dynamic_stack: false
    .vgpr_count:     8
    .vgpr_spill_count: 0
    .wavefront_size: 32
  - .args:
      - .offset:         0
        .size:           4
        .value_kind:     by_value
      - .address_space:  global
        .offset:         8
        .size:           8
        .value_kind:     global_buffer
      - .offset:         16
        .size:           8
        .value_kind:     by_value
      - .offset:         24
        .size:           4
        .value_kind:     by_value
      - .offset:         32
        .size:           8
        .value_kind:     by_value
      - .address_space:  global
        .offset:         40
        .size:           8
        .value_kind:     global_buffer
      - .offset:         48
        .size:           8
        .value_kind:     by_value
      - .offset:         56
        .size:           4
        .value_kind:     by_value
      - .offset:         64
        .size:           8
        .value_kind:     by_value
      - .offset:         72
        .size:           4
        .value_kind:     by_value
    .group_segment_fixed_size: 0
    .kernarg_segment_align: 8
    .kernarg_segment_size: 76
    .language:       OpenCL C
    .language_version:
      - 2
      - 0
    .max_flat_workgroup_size: 256
    .name:           _ZL19rocblas_copy_kernelIiLi256EPdS0_EviT1_lT_lT2_lS2_li
    .private_segment_fixed_size: 0
    .sgpr_count:     24
    .sgpr_spill_count: 0
    .symbol:         _ZL19rocblas_copy_kernelIiLi256EPdS0_EviT1_lT_lT2_lS2_li.kd
    .uniform_work_group_size: 1
    .uses_dynamic_stack: false
    .vgpr_count:     8
    .vgpr_spill_count: 0
    .wavefront_size: 32
  - .args:
      - .offset:         0
        .size:           4
        .value_kind:     by_value
      - .offset:         4
        .size:           1
        .value_kind:     by_value
      - .offset:         5
        .size:           1
        .value_kind:     by_value
      - .offset:         8
        .size:           4
        .value_kind:     by_value
      - .offset:         12
        .size:           4
        .value_kind:     by_value
      - .address_space:  global
        .offset:         16
        .size:           8
        .value_kind:     global_buffer
      - .offset:         24
        .size:           8
        .value_kind:     by_value
      - .offset:         32
        .size:           8
        .value_kind:     by_value
      - .offset:         40
        .size:           8
        .value_kind:     by_value
      - .address_space:  global
        .offset:         48
        .size:           8
        .value_kind:     global_buffer
      - .address_space:  global
        .offset:         56
        .size:           8
        .value_kind:     global_buffer
      - .offset:         64
        .size:           8
        .value_kind:     by_value
      - .offset:         72
        .size:           8
        .value_kind:     by_value
      - .offset:         80
        .size:           8
        .value_kind:     by_value
      - .offset:         88
        .size:           4
        .value_kind:     by_value
      - .offset:         96
        .size:           4
        .value_kind:     hidden_block_count_x
      - .offset:         100
        .size:           4
        .value_kind:     hidden_block_count_y
      - .offset:         104
        .size:           4
        .value_kind:     hidden_block_count_z
      - .offset:         108
        .size:           2
        .value_kind:     hidden_group_size_x
      - .offset:         110
        .size:           2
        .value_kind:     hidden_group_size_y
      - .offset:         112
        .size:           2
        .value_kind:     hidden_group_size_z
      - .offset:         114
        .size:           2
        .value_kind:     hidden_remainder_x
      - .offset:         116
        .size:           2
        .value_kind:     hidden_remainder_y
      - .offset:         118
        .size:           2
        .value_kind:     hidden_remainder_z
      - .offset:         136
        .size:           8
        .value_kind:     hidden_global_offset_x
      - .offset:         144
        .size:           8
        .value_kind:     hidden_global_offset_y
      - .offset:         152
        .size:           8
        .value_kind:     hidden_global_offset_z
      - .offset:         160
        .size:           2
        .value_kind:     hidden_grid_dims
    .group_segment_fixed_size: 8192
    .kernarg_segment_align: 8
    .kernarg_segment_size: 352
    .language:       OpenCL C
    .language_version:
      - 2
      - 0
    .max_flat_workgroup_size: 1024
    .name:           _ZL20rocblas_tbmvx_kernelILi64ELi16EPKdPdEv18rocblas_operation_bbiiT1_lllS4_T2_llli
    .private_segment_fixed_size: 0
    .sgpr_count:     48
    .sgpr_spill_count: 0
    .symbol:         _ZL20rocblas_tbmvx_kernelILi64ELi16EPKdPdEv18rocblas_operation_bbiiT1_lllS4_T2_llli.kd
    .uniform_work_group_size: 1
    .uses_dynamic_stack: false
    .vgpr_count:     36
    .vgpr_spill_count: 0
    .wavefront_size: 32
  - .args:
      - .offset:         0
        .size:           4
        .value_kind:     by_value
      - .address_space:  global
        .offset:         8
        .size:           8
        .value_kind:     global_buffer
      - .offset:         16
        .size:           8
        .value_kind:     by_value
      - .offset:         24
        .size:           8
        .value_kind:     by_value
      - .offset:         32
        .size:           8
        .value_kind:     by_value
      - .address_space:  global
        .offset:         40
        .size:           8
        .value_kind:     global_buffer
      - .offset:         48
        .size:           8
        .value_kind:     by_value
      - .offset:         56
        .size:           8
        .value_kind:     by_value
      - .offset:         64
        .size:           8
        .value_kind:     by_value
      - .offset:         72
        .size:           4
        .value_kind:     by_value
    .group_segment_fixed_size: 0
    .kernarg_segment_align: 8
    .kernarg_segment_size: 76
    .language:       OpenCL C
    .language_version:
      - 2
      - 0
    .max_flat_workgroup_size: 256
    .name:           _ZL19rocblas_copy_kernelIlLi256EP19rocblas_complex_numIfES2_EviT1_lT_lT2_lS4_li
    .private_segment_fixed_size: 0
    .sgpr_count:     27
    .sgpr_spill_count: 0
    .symbol:         _ZL19rocblas_copy_kernelIlLi256EP19rocblas_complex_numIfES2_EviT1_lT_lT2_lS4_li.kd
    .uniform_work_group_size: 1
    .uses_dynamic_stack: false
    .vgpr_count:     8
    .vgpr_spill_count: 0
    .wavefront_size: 32
  - .args:
      - .offset:         0
        .size:           4
        .value_kind:     by_value
      - .address_space:  global
        .offset:         8
        .size:           8
        .value_kind:     global_buffer
      - .offset:         16
        .size:           8
        .value_kind:     by_value
      - .offset:         24
        .size:           4
        .value_kind:     by_value
      - .offset:         32
        .size:           8
        .value_kind:     by_value
      - .address_space:  global
        .offset:         40
        .size:           8
        .value_kind:     global_buffer
      - .offset:         48
        .size:           8
        .value_kind:     by_value
      - .offset:         56
        .size:           4
        .value_kind:     by_value
      - .offset:         64
        .size:           8
        .value_kind:     by_value
      - .offset:         72
        .size:           4
        .value_kind:     by_value
    .group_segment_fixed_size: 0
    .kernarg_segment_align: 8
    .kernarg_segment_size: 76
    .language:       OpenCL C
    .language_version:
      - 2
      - 0
    .max_flat_workgroup_size: 256
    .name:           _ZL19rocblas_copy_kernelIiLi256EP19rocblas_complex_numIfES2_EviT1_lT_lT2_lS4_li
    .private_segment_fixed_size: 0
    .sgpr_count:     24
    .sgpr_spill_count: 0
    .symbol:         _ZL19rocblas_copy_kernelIiLi256EP19rocblas_complex_numIfES2_EviT1_lT_lT2_lS4_li.kd
    .uniform_work_group_size: 1
    .uses_dynamic_stack: false
    .vgpr_count:     8
    .vgpr_spill_count: 0
    .wavefront_size: 32
  - .args:
      - .offset:         0
        .size:           4
        .value_kind:     by_value
      - .offset:         4
        .size:           1
        .value_kind:     by_value
      - .offset:         5
        .size:           1
        .value_kind:     by_value
      - .offset:         8
        .size:           4
        .value_kind:     by_value
      - .offset:         12
        .size:           4
        .value_kind:     by_value
      - .address_space:  global
        .offset:         16
        .size:           8
        .value_kind:     global_buffer
      - .offset:         24
        .size:           8
        .value_kind:     by_value
      - .offset:         32
        .size:           8
        .value_kind:     by_value
      - .offset:         40
        .size:           8
        .value_kind:     by_value
      - .address_space:  global
        .offset:         48
        .size:           8
        .value_kind:     global_buffer
      - .address_space:  global
        .offset:         56
        .size:           8
        .value_kind:     global_buffer
      - .offset:         64
        .size:           8
        .value_kind:     by_value
      - .offset:         72
        .size:           8
        .value_kind:     by_value
      - .offset:         80
        .size:           8
        .value_kind:     by_value
      - .offset:         88
        .size:           4
        .value_kind:     by_value
      - .offset:         96
        .size:           4
        .value_kind:     hidden_block_count_x
      - .offset:         100
        .size:           4
        .value_kind:     hidden_block_count_y
      - .offset:         104
        .size:           4
        .value_kind:     hidden_block_count_z
      - .offset:         108
        .size:           2
        .value_kind:     hidden_group_size_x
      - .offset:         110
        .size:           2
        .value_kind:     hidden_group_size_y
      - .offset:         112
        .size:           2
        .value_kind:     hidden_group_size_z
      - .offset:         114
        .size:           2
        .value_kind:     hidden_remainder_x
      - .offset:         116
        .size:           2
        .value_kind:     hidden_remainder_y
      - .offset:         118
        .size:           2
        .value_kind:     hidden_remainder_z
      - .offset:         136
        .size:           8
        .value_kind:     hidden_global_offset_x
      - .offset:         144
        .size:           8
        .value_kind:     hidden_global_offset_y
      - .offset:         152
        .size:           8
        .value_kind:     hidden_global_offset_z
      - .offset:         160
        .size:           2
        .value_kind:     hidden_grid_dims
    .group_segment_fixed_size: 8192
    .kernarg_segment_align: 8
    .kernarg_segment_size: 352
    .language:       OpenCL C
    .language_version:
      - 2
      - 0
    .max_flat_workgroup_size: 1024
    .name:           _ZL20rocblas_tbmvx_kernelILi64ELi16EPK19rocblas_complex_numIfEPS1_Ev18rocblas_operation_bbiiT1_lllS6_T2_llli
    .private_segment_fixed_size: 0
    .sgpr_count:     48
    .sgpr_spill_count: 0
    .symbol:         _ZL20rocblas_tbmvx_kernelILi64ELi16EPK19rocblas_complex_numIfEPS1_Ev18rocblas_operation_bbiiT1_lllS6_T2_llli.kd
    .uniform_work_group_size: 1
    .uses_dynamic_stack: false
    .vgpr_count:     40
    .vgpr_spill_count: 0
    .wavefront_size: 32
  - .args:
      - .offset:         0
        .size:           4
        .value_kind:     by_value
      - .address_space:  global
        .offset:         8
        .size:           8
        .value_kind:     global_buffer
      - .offset:         16
        .size:           8
        .value_kind:     by_value
      - .offset:         24
        .size:           8
        .value_kind:     by_value
      - .offset:         32
        .size:           8
        .value_kind:     by_value
      - .address_space:  global
        .offset:         40
        .size:           8
        .value_kind:     global_buffer
      - .offset:         48
        .size:           8
        .value_kind:     by_value
      - .offset:         56
        .size:           8
        .value_kind:     by_value
      - .offset:         64
        .size:           8
        .value_kind:     by_value
      - .offset:         72
        .size:           4
        .value_kind:     by_value
    .group_segment_fixed_size: 0
    .kernarg_segment_align: 8
    .kernarg_segment_size: 76
    .language:       OpenCL C
    .language_version:
      - 2
      - 0
    .max_flat_workgroup_size: 256
    .name:           _ZL19rocblas_copy_kernelIlLi256EP19rocblas_complex_numIdES2_EviT1_lT_lT2_lS4_li
    .private_segment_fixed_size: 0
    .sgpr_count:     27
    .sgpr_spill_count: 0
    .symbol:         _ZL19rocblas_copy_kernelIlLi256EP19rocblas_complex_numIdES2_EviT1_lT_lT2_lS4_li.kd
    .uniform_work_group_size: 1
    .uses_dynamic_stack: false
    .vgpr_count:     10
    .vgpr_spill_count: 0
    .wavefront_size: 32
  - .args:
      - .offset:         0
        .size:           4
        .value_kind:     by_value
      - .address_space:  global
        .offset:         8
        .size:           8
        .value_kind:     global_buffer
      - .offset:         16
        .size:           8
        .value_kind:     by_value
      - .offset:         24
        .size:           4
        .value_kind:     by_value
      - .offset:         32
        .size:           8
        .value_kind:     by_value
      - .address_space:  global
        .offset:         40
        .size:           8
        .value_kind:     global_buffer
      - .offset:         48
        .size:           8
        .value_kind:     by_value
      - .offset:         56
        .size:           4
        .value_kind:     by_value
      - .offset:         64
        .size:           8
        .value_kind:     by_value
      - .offset:         72
        .size:           4
        .value_kind:     by_value
    .group_segment_fixed_size: 0
    .kernarg_segment_align: 8
    .kernarg_segment_size: 76
    .language:       OpenCL C
    .language_version:
      - 2
      - 0
    .max_flat_workgroup_size: 256
    .name:           _ZL19rocblas_copy_kernelIiLi256EP19rocblas_complex_numIdES2_EviT1_lT_lT2_lS4_li
    .private_segment_fixed_size: 0
    .sgpr_count:     24
    .sgpr_spill_count: 0
    .symbol:         _ZL19rocblas_copy_kernelIiLi256EP19rocblas_complex_numIdES2_EviT1_lT_lT2_lS4_li.kd
    .uniform_work_group_size: 1
    .uses_dynamic_stack: false
    .vgpr_count:     10
    .vgpr_spill_count: 0
    .wavefront_size: 32
  - .args:
      - .offset:         0
        .size:           4
        .value_kind:     by_value
      - .offset:         4
        .size:           1
        .value_kind:     by_value
      - .offset:         5
        .size:           1
        .value_kind:     by_value
      - .offset:         8
        .size:           4
        .value_kind:     by_value
      - .offset:         12
        .size:           4
        .value_kind:     by_value
      - .address_space:  global
        .offset:         16
        .size:           8
        .value_kind:     global_buffer
      - .offset:         24
        .size:           8
        .value_kind:     by_value
      - .offset:         32
        .size:           8
        .value_kind:     by_value
      - .offset:         40
        .size:           8
        .value_kind:     by_value
      - .address_space:  global
        .offset:         48
        .size:           8
        .value_kind:     global_buffer
      - .address_space:  global
        .offset:         56
        .size:           8
        .value_kind:     global_buffer
      - .offset:         64
        .size:           8
        .value_kind:     by_value
      - .offset:         72
        .size:           8
        .value_kind:     by_value
      - .offset:         80
        .size:           8
        .value_kind:     by_value
      - .offset:         88
        .size:           4
        .value_kind:     by_value
      - .offset:         96
        .size:           4
        .value_kind:     hidden_block_count_x
      - .offset:         100
        .size:           4
        .value_kind:     hidden_block_count_y
      - .offset:         104
        .size:           4
        .value_kind:     hidden_block_count_z
      - .offset:         108
        .size:           2
        .value_kind:     hidden_group_size_x
      - .offset:         110
        .size:           2
        .value_kind:     hidden_group_size_y
      - .offset:         112
        .size:           2
        .value_kind:     hidden_group_size_z
      - .offset:         114
        .size:           2
        .value_kind:     hidden_remainder_x
      - .offset:         116
        .size:           2
        .value_kind:     hidden_remainder_y
      - .offset:         118
        .size:           2
        .value_kind:     hidden_remainder_z
      - .offset:         136
        .size:           8
        .value_kind:     hidden_global_offset_x
      - .offset:         144
        .size:           8
        .value_kind:     hidden_global_offset_y
      - .offset:         152
        .size:           8
        .value_kind:     hidden_global_offset_z
      - .offset:         160
        .size:           2
        .value_kind:     hidden_grid_dims
    .group_segment_fixed_size: 16384
    .kernarg_segment_align: 8
    .kernarg_segment_size: 352
    .language:       OpenCL C
    .language_version:
      - 2
      - 0
    .max_flat_workgroup_size: 1024
    .name:           _ZL20rocblas_tbmvx_kernelILi64ELi16EPK19rocblas_complex_numIdEPS1_Ev18rocblas_operation_bbiiT1_lllS6_T2_llli
    .private_segment_fixed_size: 0
    .sgpr_count:     48
    .sgpr_spill_count: 0
    .symbol:         _ZL20rocblas_tbmvx_kernelILi64ELi16EPK19rocblas_complex_numIdEPS1_Ev18rocblas_operation_bbiiT1_lllS6_T2_llli.kd
    .uniform_work_group_size: 1
    .uses_dynamic_stack: false
    .vgpr_count:     44
    .vgpr_spill_count: 0
    .wavefront_size: 32
  - .args:
      - .offset:         0
        .size:           4
        .value_kind:     by_value
      - .address_space:  global
        .offset:         8
        .size:           8
        .value_kind:     global_buffer
      - .offset:         16
        .size:           8
        .value_kind:     by_value
      - .offset:         24
        .size:           8
        .value_kind:     by_value
      - .offset:         32
        .size:           8
        .value_kind:     by_value
      - .address_space:  global
        .offset:         40
        .size:           8
        .value_kind:     global_buffer
      - .offset:         48
        .size:           8
        .value_kind:     by_value
      - .offset:         56
        .size:           8
        .value_kind:     by_value
      - .offset:         64
        .size:           8
        .value_kind:     by_value
      - .offset:         72
        .size:           4
        .value_kind:     by_value
    .group_segment_fixed_size: 0
    .kernarg_segment_align: 8
    .kernarg_segment_size: 76
    .language:       OpenCL C
    .language_version:
      - 2
      - 0
    .max_flat_workgroup_size: 256
    .name:           _ZL19rocblas_copy_kernelIlLi256EPKPfS2_EviT1_lT_lT2_lS4_li
    .private_segment_fixed_size: 0
    .sgpr_count:     22
    .sgpr_spill_count: 0
    .symbol:         _ZL19rocblas_copy_kernelIlLi256EPKPfS2_EviT1_lT_lT2_lS4_li.kd
    .uniform_work_group_size: 1
    .uses_dynamic_stack: false
    .vgpr_count:     7
    .vgpr_spill_count: 0
    .wavefront_size: 32
  - .args:
      - .offset:         0
        .size:           4
        .value_kind:     by_value
      - .actual_access:  read_only
        .address_space:  global
        .offset:         8
        .size:           8
        .value_kind:     global_buffer
      - .offset:         16
        .size:           8
        .value_kind:     by_value
      - .offset:         24
        .size:           8
        .value_kind:     by_value
      - .actual_access:  read_only
        .address_space:  global
        .offset:         32
        .size:           8
        .value_kind:     global_buffer
      - .offset:         40
        .size:           8
        .value_kind:     by_value
      - .offset:         48
        .size:           8
        .value_kind:     by_value
      - .offset:         56
        .size:           4
        .value_kind:     by_value
    .group_segment_fixed_size: 0
    .kernarg_segment_align: 8
    .kernarg_segment_size: 60
    .language:       OpenCL C
    .language_version:
      - 2
      - 0
    .max_flat_workgroup_size: 256
    .name:           _ZL22rocblas_scopy_2_kernelILi256EPKPfS2_EviT0_llT1_lli
    .private_segment_fixed_size: 0
    .sgpr_count:     18
    .sgpr_spill_count: 0
    .symbol:         _ZL22rocblas_scopy_2_kernelILi256EPKPfS2_EviT0_llT1_lli.kd
    .uniform_work_group_size: 1
    .uses_dynamic_stack: false
    .vgpr_count:     7
    .vgpr_spill_count: 0
    .wavefront_size: 32
  - .args:
      - .offset:         0
        .size:           4
        .value_kind:     by_value
      - .address_space:  global
        .offset:         8
        .size:           8
        .value_kind:     global_buffer
      - .offset:         16
        .size:           8
        .value_kind:     by_value
      - .offset:         24
        .size:           4
        .value_kind:     by_value
      - .offset:         32
        .size:           8
        .value_kind:     by_value
      - .address_space:  global
        .offset:         40
        .size:           8
        .value_kind:     global_buffer
      - .offset:         48
        .size:           8
        .value_kind:     by_value
      - .offset:         56
        .size:           4
        .value_kind:     by_value
      - .offset:         64
        .size:           8
        .value_kind:     by_value
      - .offset:         72
        .size:           4
        .value_kind:     by_value
    .group_segment_fixed_size: 0
    .kernarg_segment_align: 8
    .kernarg_segment_size: 76
    .language:       OpenCL C
    .language_version:
      - 2
      - 0
    .max_flat_workgroup_size: 256
    .name:           _ZL19rocblas_copy_kernelIiLi256EPKPfS2_EviT1_lT_lT2_lS4_li
    .private_segment_fixed_size: 0
    .sgpr_count:     18
    .sgpr_spill_count: 0
    .symbol:         _ZL19rocblas_copy_kernelIiLi256EPKPfS2_EviT1_lT_lT2_lS4_li.kd
    .uniform_work_group_size: 1
    .uses_dynamic_stack: false
    .vgpr_count:     7
    .vgpr_spill_count: 0
    .wavefront_size: 32
  - .args:
      - .offset:         0
        .size:           4
        .value_kind:     by_value
      - .offset:         4
        .size:           1
        .value_kind:     by_value
      - .offset:         5
        .size:           1
        .value_kind:     by_value
      - .offset:         8
        .size:           4
        .value_kind:     by_value
      - .offset:         12
        .size:           4
        .value_kind:     by_value
      - .address_space:  global
        .offset:         16
        .size:           8
        .value_kind:     global_buffer
      - .offset:         24
        .size:           8
        .value_kind:     by_value
      - .offset:         32
        .size:           8
        .value_kind:     by_value
      - .offset:         40
        .size:           8
        .value_kind:     by_value
      - .address_space:  global
        .offset:         48
        .size:           8
        .value_kind:     global_buffer
      - .address_space:  global
        .offset:         56
        .size:           8
        .value_kind:     global_buffer
      - .offset:         64
        .size:           8
        .value_kind:     by_value
      - .offset:         72
        .size:           8
        .value_kind:     by_value
      - .offset:         80
        .size:           8
        .value_kind:     by_value
      - .offset:         88
        .size:           4
        .value_kind:     by_value
      - .offset:         96
        .size:           4
        .value_kind:     hidden_block_count_x
      - .offset:         100
        .size:           4
        .value_kind:     hidden_block_count_y
      - .offset:         104
        .size:           4
        .value_kind:     hidden_block_count_z
      - .offset:         108
        .size:           2
        .value_kind:     hidden_group_size_x
      - .offset:         110
        .size:           2
        .value_kind:     hidden_group_size_y
      - .offset:         112
        .size:           2
        .value_kind:     hidden_group_size_z
      - .offset:         114
        .size:           2
        .value_kind:     hidden_remainder_x
      - .offset:         116
        .size:           2
        .value_kind:     hidden_remainder_y
      - .offset:         118
        .size:           2
        .value_kind:     hidden_remainder_z
      - .offset:         136
        .size:           8
        .value_kind:     hidden_global_offset_x
      - .offset:         144
        .size:           8
        .value_kind:     hidden_global_offset_y
      - .offset:         152
        .size:           8
        .value_kind:     hidden_global_offset_z
      - .offset:         160
        .size:           2
        .value_kind:     hidden_grid_dims
    .group_segment_fixed_size: 4096
    .kernarg_segment_align: 8
    .kernarg_segment_size: 352
    .language:       OpenCL C
    .language_version:
      - 2
      - 0
    .max_flat_workgroup_size: 1024
    .name:           _ZL20rocblas_tbmvx_kernelILi64ELi16EPKPKfPKPfEv18rocblas_operation_bbiiT1_lllS8_T2_llli
    .private_segment_fixed_size: 0
    .sgpr_count:     39
    .sgpr_spill_count: 0
    .symbol:         _ZL20rocblas_tbmvx_kernelILi64ELi16EPKPKfPKPfEv18rocblas_operation_bbiiT1_lllS8_T2_llli.kd
    .uniform_work_group_size: 1
    .uses_dynamic_stack: false
    .vgpr_count:     38
    .vgpr_spill_count: 0
    .wavefront_size: 32
  - .args:
      - .offset:         0
        .size:           4
        .value_kind:     by_value
      - .address_space:  global
        .offset:         8
        .size:           8
        .value_kind:     global_buffer
      - .offset:         16
        .size:           8
        .value_kind:     by_value
      - .offset:         24
        .size:           8
        .value_kind:     by_value
      - .offset:         32
        .size:           8
        .value_kind:     by_value
      - .address_space:  global
        .offset:         40
        .size:           8
        .value_kind:     global_buffer
      - .offset:         48
        .size:           8
        .value_kind:     by_value
      - .offset:         56
        .size:           8
        .value_kind:     by_value
      - .offset:         64
        .size:           8
        .value_kind:     by_value
      - .offset:         72
        .size:           4
        .value_kind:     by_value
    .group_segment_fixed_size: 0
    .kernarg_segment_align: 8
    .kernarg_segment_size: 76
    .language:       OpenCL C
    .language_version:
      - 2
      - 0
    .max_flat_workgroup_size: 256
    .name:           _ZL19rocblas_copy_kernelIlLi256EPKPdS2_EviT1_lT_lT2_lS4_li
    .private_segment_fixed_size: 0
    .sgpr_count:     22
    .sgpr_spill_count: 0
    .symbol:         _ZL19rocblas_copy_kernelIlLi256EPKPdS2_EviT1_lT_lT2_lS4_li.kd
    .uniform_work_group_size: 1
    .uses_dynamic_stack: false
    .vgpr_count:     8
    .vgpr_spill_count: 0
    .wavefront_size: 32
  - .args:
      - .offset:         0
        .size:           4
        .value_kind:     by_value
      - .address_space:  global
        .offset:         8
        .size:           8
        .value_kind:     global_buffer
      - .offset:         16
        .size:           8
        .value_kind:     by_value
      - .offset:         24
        .size:           4
        .value_kind:     by_value
      - .offset:         32
        .size:           8
        .value_kind:     by_value
      - .address_space:  global
        .offset:         40
        .size:           8
        .value_kind:     global_buffer
      - .offset:         48
        .size:           8
        .value_kind:     by_value
      - .offset:         56
        .size:           4
        .value_kind:     by_value
      - .offset:         64
        .size:           8
        .value_kind:     by_value
      - .offset:         72
        .size:           4
        .value_kind:     by_value
    .group_segment_fixed_size: 0
    .kernarg_segment_align: 8
    .kernarg_segment_size: 76
    .language:       OpenCL C
    .language_version:
      - 2
      - 0
    .max_flat_workgroup_size: 256
    .name:           _ZL19rocblas_copy_kernelIiLi256EPKPdS2_EviT1_lT_lT2_lS4_li
    .private_segment_fixed_size: 0
    .sgpr_count:     18
    .sgpr_spill_count: 0
    .symbol:         _ZL19rocblas_copy_kernelIiLi256EPKPdS2_EviT1_lT_lT2_lS4_li.kd
    .uniform_work_group_size: 1
    .uses_dynamic_stack: false
    .vgpr_count:     8
    .vgpr_spill_count: 0
    .wavefront_size: 32
  - .args:
      - .offset:         0
        .size:           4
        .value_kind:     by_value
      - .offset:         4
        .size:           1
        .value_kind:     by_value
      - .offset:         5
        .size:           1
        .value_kind:     by_value
      - .offset:         8
        .size:           4
        .value_kind:     by_value
      - .offset:         12
        .size:           4
        .value_kind:     by_value
      - .address_space:  global
        .offset:         16
        .size:           8
        .value_kind:     global_buffer
      - .offset:         24
        .size:           8
        .value_kind:     by_value
      - .offset:         32
        .size:           8
        .value_kind:     by_value
      - .offset:         40
        .size:           8
        .value_kind:     by_value
      - .address_space:  global
        .offset:         48
        .size:           8
        .value_kind:     global_buffer
      - .address_space:  global
        .offset:         56
        .size:           8
        .value_kind:     global_buffer
      - .offset:         64
        .size:           8
        .value_kind:     by_value
      - .offset:         72
        .size:           8
        .value_kind:     by_value
      - .offset:         80
        .size:           8
        .value_kind:     by_value
      - .offset:         88
        .size:           4
        .value_kind:     by_value
      - .offset:         96
        .size:           4
        .value_kind:     hidden_block_count_x
      - .offset:         100
        .size:           4
        .value_kind:     hidden_block_count_y
      - .offset:         104
        .size:           4
        .value_kind:     hidden_block_count_z
      - .offset:         108
        .size:           2
        .value_kind:     hidden_group_size_x
      - .offset:         110
        .size:           2
        .value_kind:     hidden_group_size_y
      - .offset:         112
        .size:           2
        .value_kind:     hidden_group_size_z
      - .offset:         114
        .size:           2
        .value_kind:     hidden_remainder_x
      - .offset:         116
        .size:           2
        .value_kind:     hidden_remainder_y
      - .offset:         118
        .size:           2
        .value_kind:     hidden_remainder_z
      - .offset:         136
        .size:           8
        .value_kind:     hidden_global_offset_x
      - .offset:         144
        .size:           8
        .value_kind:     hidden_global_offset_y
      - .offset:         152
        .size:           8
        .value_kind:     hidden_global_offset_z
      - .offset:         160
        .size:           2
        .value_kind:     hidden_grid_dims
    .group_segment_fixed_size: 8192
    .kernarg_segment_align: 8
    .kernarg_segment_size: 352
    .language:       OpenCL C
    .language_version:
      - 2
      - 0
    .max_flat_workgroup_size: 1024
    .name:           _ZL20rocblas_tbmvx_kernelILi64ELi16EPKPKdPKPdEv18rocblas_operation_bbiiT1_lllS8_T2_llli
    .private_segment_fixed_size: 0
    .sgpr_count:     39
    .sgpr_spill_count: 0
    .symbol:         _ZL20rocblas_tbmvx_kernelILi64ELi16EPKPKdPKPdEv18rocblas_operation_bbiiT1_lllS8_T2_llli.kd
    .uniform_work_group_size: 1
    .uses_dynamic_stack: false
    .vgpr_count:     42
    .vgpr_spill_count: 0
    .wavefront_size: 32
  - .args:
      - .offset:         0
        .size:           4
        .value_kind:     by_value
      - .address_space:  global
        .offset:         8
        .size:           8
        .value_kind:     global_buffer
      - .offset:         16
        .size:           8
        .value_kind:     by_value
      - .offset:         24
        .size:           8
        .value_kind:     by_value
      - .offset:         32
        .size:           8
        .value_kind:     by_value
      - .address_space:  global
        .offset:         40
        .size:           8
        .value_kind:     global_buffer
      - .offset:         48
        .size:           8
        .value_kind:     by_value
      - .offset:         56
        .size:           8
        .value_kind:     by_value
      - .offset:         64
        .size:           8
        .value_kind:     by_value
      - .offset:         72
        .size:           4
        .value_kind:     by_value
    .group_segment_fixed_size: 0
    .kernarg_segment_align: 8
    .kernarg_segment_size: 76
    .language:       OpenCL C
    .language_version:
      - 2
      - 0
    .max_flat_workgroup_size: 256
    .name:           _ZL19rocblas_copy_kernelIlLi256EPKP19rocblas_complex_numIfES4_EviT1_lT_lT2_lS6_li
    .private_segment_fixed_size: 0
    .sgpr_count:     22
    .sgpr_spill_count: 0
    .symbol:         _ZL19rocblas_copy_kernelIlLi256EPKP19rocblas_complex_numIfES4_EviT1_lT_lT2_lS6_li.kd
    .uniform_work_group_size: 1
    .uses_dynamic_stack: false
    .vgpr_count:     9
    .vgpr_spill_count: 0
    .wavefront_size: 32
  - .args:
      - .offset:         0
        .size:           4
        .value_kind:     by_value
      - .address_space:  global
        .offset:         8
        .size:           8
        .value_kind:     global_buffer
      - .offset:         16
        .size:           8
        .value_kind:     by_value
      - .offset:         24
        .size:           4
        .value_kind:     by_value
      - .offset:         32
        .size:           8
        .value_kind:     by_value
      - .address_space:  global
        .offset:         40
        .size:           8
        .value_kind:     global_buffer
      - .offset:         48
        .size:           8
        .value_kind:     by_value
      - .offset:         56
        .size:           4
        .value_kind:     by_value
      - .offset:         64
        .size:           8
        .value_kind:     by_value
      - .offset:         72
        .size:           4
        .value_kind:     by_value
    .group_segment_fixed_size: 0
    .kernarg_segment_align: 8
    .kernarg_segment_size: 76
    .language:       OpenCL C
    .language_version:
      - 2
      - 0
    .max_flat_workgroup_size: 256
    .name:           _ZL19rocblas_copy_kernelIiLi256EPKP19rocblas_complex_numIfES4_EviT1_lT_lT2_lS6_li
    .private_segment_fixed_size: 0
    .sgpr_count:     18
    .sgpr_spill_count: 0
    .symbol:         _ZL19rocblas_copy_kernelIiLi256EPKP19rocblas_complex_numIfES4_EviT1_lT_lT2_lS6_li.kd
    .uniform_work_group_size: 1
    .uses_dynamic_stack: false
    .vgpr_count:     9
    .vgpr_spill_count: 0
    .wavefront_size: 32
  - .args:
      - .offset:         0
        .size:           4
        .value_kind:     by_value
      - .offset:         4
        .size:           1
        .value_kind:     by_value
      - .offset:         5
        .size:           1
        .value_kind:     by_value
      - .offset:         8
        .size:           4
        .value_kind:     by_value
      - .offset:         12
        .size:           4
        .value_kind:     by_value
      - .address_space:  global
        .offset:         16
        .size:           8
        .value_kind:     global_buffer
      - .offset:         24
        .size:           8
        .value_kind:     by_value
      - .offset:         32
        .size:           8
        .value_kind:     by_value
      - .offset:         40
        .size:           8
        .value_kind:     by_value
      - .address_space:  global
        .offset:         48
        .size:           8
        .value_kind:     global_buffer
      - .address_space:  global
        .offset:         56
        .size:           8
        .value_kind:     global_buffer
      - .offset:         64
        .size:           8
        .value_kind:     by_value
      - .offset:         72
        .size:           8
        .value_kind:     by_value
      - .offset:         80
        .size:           8
        .value_kind:     by_value
      - .offset:         88
        .size:           4
        .value_kind:     by_value
      - .offset:         96
        .size:           4
        .value_kind:     hidden_block_count_x
      - .offset:         100
        .size:           4
        .value_kind:     hidden_block_count_y
      - .offset:         104
        .size:           4
        .value_kind:     hidden_block_count_z
      - .offset:         108
        .size:           2
        .value_kind:     hidden_group_size_x
      - .offset:         110
        .size:           2
        .value_kind:     hidden_group_size_y
      - .offset:         112
        .size:           2
        .value_kind:     hidden_group_size_z
      - .offset:         114
        .size:           2
        .value_kind:     hidden_remainder_x
      - .offset:         116
        .size:           2
        .value_kind:     hidden_remainder_y
      - .offset:         118
        .size:           2
        .value_kind:     hidden_remainder_z
      - .offset:         136
        .size:           8
        .value_kind:     hidden_global_offset_x
      - .offset:         144
        .size:           8
        .value_kind:     hidden_global_offset_y
      - .offset:         152
        .size:           8
        .value_kind:     hidden_global_offset_z
      - .offset:         160
        .size:           2
        .value_kind:     hidden_grid_dims
    .group_segment_fixed_size: 8192
    .kernarg_segment_align: 8
    .kernarg_segment_size: 352
    .language:       OpenCL C
    .language_version:
      - 2
      - 0
    .max_flat_workgroup_size: 1024
    .name:           _ZL20rocblas_tbmvx_kernelILi64ELi16EPKPK19rocblas_complex_numIfEPKPS1_Ev18rocblas_operation_bbiiT1_lllSA_T2_llli
    .private_segment_fixed_size: 0
    .sgpr_count:     40
    .sgpr_spill_count: 0
    .symbol:         _ZL20rocblas_tbmvx_kernelILi64ELi16EPKPK19rocblas_complex_numIfEPKPS1_Ev18rocblas_operation_bbiiT1_lllSA_T2_llli.kd
    .uniform_work_group_size: 1
    .uses_dynamic_stack: false
    .vgpr_count:     46
    .vgpr_spill_count: 0
    .wavefront_size: 32
  - .args:
      - .offset:         0
        .size:           4
        .value_kind:     by_value
      - .address_space:  global
        .offset:         8
        .size:           8
        .value_kind:     global_buffer
      - .offset:         16
        .size:           8
        .value_kind:     by_value
      - .offset:         24
        .size:           8
        .value_kind:     by_value
      - .offset:         32
        .size:           8
        .value_kind:     by_value
      - .address_space:  global
        .offset:         40
        .size:           8
        .value_kind:     global_buffer
      - .offset:         48
        .size:           8
        .value_kind:     by_value
      - .offset:         56
        .size:           8
        .value_kind:     by_value
      - .offset:         64
        .size:           8
        .value_kind:     by_value
      - .offset:         72
        .size:           4
        .value_kind:     by_value
    .group_segment_fixed_size: 0
    .kernarg_segment_align: 8
    .kernarg_segment_size: 76
    .language:       OpenCL C
    .language_version:
      - 2
      - 0
    .max_flat_workgroup_size: 256
    .name:           _ZL19rocblas_copy_kernelIlLi256EPKP19rocblas_complex_numIdES4_EviT1_lT_lT2_lS6_li
    .private_segment_fixed_size: 0
    .sgpr_count:     22
    .sgpr_spill_count: 0
    .symbol:         _ZL19rocblas_copy_kernelIlLi256EPKP19rocblas_complex_numIdES4_EviT1_lT_lT2_lS6_li.kd
    .uniform_work_group_size: 1
    .uses_dynamic_stack: false
    .vgpr_count:     10
    .vgpr_spill_count: 0
    .wavefront_size: 32
  - .args:
      - .offset:         0
        .size:           4
        .value_kind:     by_value
      - .address_space:  global
        .offset:         8
        .size:           8
        .value_kind:     global_buffer
      - .offset:         16
        .size:           8
        .value_kind:     by_value
      - .offset:         24
        .size:           4
        .value_kind:     by_value
      - .offset:         32
        .size:           8
        .value_kind:     by_value
      - .address_space:  global
        .offset:         40
        .size:           8
        .value_kind:     global_buffer
      - .offset:         48
        .size:           8
        .value_kind:     by_value
      - .offset:         56
        .size:           4
        .value_kind:     by_value
      - .offset:         64
        .size:           8
        .value_kind:     by_value
      - .offset:         72
        .size:           4
        .value_kind:     by_value
    .group_segment_fixed_size: 0
    .kernarg_segment_align: 8
    .kernarg_segment_size: 76
    .language:       OpenCL C
    .language_version:
      - 2
      - 0
    .max_flat_workgroup_size: 256
    .name:           _ZL19rocblas_copy_kernelIiLi256EPKP19rocblas_complex_numIdES4_EviT1_lT_lT2_lS6_li
    .private_segment_fixed_size: 0
    .sgpr_count:     18
    .sgpr_spill_count: 0
    .symbol:         _ZL19rocblas_copy_kernelIiLi256EPKP19rocblas_complex_numIdES4_EviT1_lT_lT2_lS6_li.kd
    .uniform_work_group_size: 1
    .uses_dynamic_stack: false
    .vgpr_count:     10
    .vgpr_spill_count: 0
    .wavefront_size: 32
  - .args:
      - .offset:         0
        .size:           4
        .value_kind:     by_value
      - .offset:         4
        .size:           1
        .value_kind:     by_value
      - .offset:         5
        .size:           1
        .value_kind:     by_value
      - .offset:         8
        .size:           4
        .value_kind:     by_value
      - .offset:         12
        .size:           4
        .value_kind:     by_value
      - .address_space:  global
        .offset:         16
        .size:           8
        .value_kind:     global_buffer
      - .offset:         24
        .size:           8
        .value_kind:     by_value
      - .offset:         32
        .size:           8
        .value_kind:     by_value
      - .offset:         40
        .size:           8
        .value_kind:     by_value
      - .address_space:  global
        .offset:         48
        .size:           8
        .value_kind:     global_buffer
      - .address_space:  global
        .offset:         56
        .size:           8
        .value_kind:     global_buffer
      - .offset:         64
        .size:           8
        .value_kind:     by_value
      - .offset:         72
        .size:           8
        .value_kind:     by_value
      - .offset:         80
        .size:           8
        .value_kind:     by_value
      - .offset:         88
        .size:           4
        .value_kind:     by_value
      - .offset:         96
        .size:           4
        .value_kind:     hidden_block_count_x
      - .offset:         100
        .size:           4
        .value_kind:     hidden_block_count_y
      - .offset:         104
        .size:           4
        .value_kind:     hidden_block_count_z
      - .offset:         108
        .size:           2
        .value_kind:     hidden_group_size_x
      - .offset:         110
        .size:           2
        .value_kind:     hidden_group_size_y
      - .offset:         112
        .size:           2
        .value_kind:     hidden_group_size_z
      - .offset:         114
        .size:           2
        .value_kind:     hidden_remainder_x
      - .offset:         116
        .size:           2
        .value_kind:     hidden_remainder_y
      - .offset:         118
        .size:           2
        .value_kind:     hidden_remainder_z
      - .offset:         136
        .size:           8
        .value_kind:     hidden_global_offset_x
      - .offset:         144
        .size:           8
        .value_kind:     hidden_global_offset_y
      - .offset:         152
        .size:           8
        .value_kind:     hidden_global_offset_z
      - .offset:         160
        .size:           2
        .value_kind:     hidden_grid_dims
    .group_segment_fixed_size: 16384
    .kernarg_segment_align: 8
    .kernarg_segment_size: 352
    .language:       OpenCL C
    .language_version:
      - 2
      - 0
    .max_flat_workgroup_size: 1024
    .name:           _ZL20rocblas_tbmvx_kernelILi64ELi16EPKPK19rocblas_complex_numIdEPKPS1_Ev18rocblas_operation_bbiiT1_lllSA_T2_llli
    .private_segment_fixed_size: 0
    .sgpr_count:     40
    .sgpr_spill_count: 0
    .symbol:         _ZL20rocblas_tbmvx_kernelILi64ELi16EPKPK19rocblas_complex_numIdEPKPS1_Ev18rocblas_operation_bbiiT1_lllSA_T2_llli.kd
    .uniform_work_group_size: 1
    .uses_dynamic_stack: false
    .vgpr_count:     50
    .vgpr_spill_count: 0
    .wavefront_size: 32
amdhsa.target:   amdgcn-amd-amdhsa--gfx1250
amdhsa.version:
  - 1
  - 2
...

	.end_amdgpu_metadata
